;; amdgpu-corpus repo=ROCm/aiter kind=harvested arch=n/a opt=n/a

/root/src/amdgpu-assembly/repos/ROCm__aiter/hsa/gfx950/fmoe_2stages/fmoe_stage1_bf16_pertokenFp8_doweight_g1u1_128x64_pf2.co:	file format elf64-amdgpu

Disassembly of section .text:

0000000000002a00 <_ZN5aiter53fmoe_stage1_bf16_pertokenFp8_doweight_g1u1_128x64_pf2E>:
	s_and_b32 s1, s1, 0xffff                                   // 000000002A00: 8601FF01 0000FFFF
	s_load_dwordx2 s[8:9], s[0:1], 0x0                         // 000000002A08: C0060200 00000000
	s_load_dwordx2 s[20:21], s[0:1], 0x10                      // 000000002A10: C0060500 00000010
	s_load_dwordx2 s[24:25], s[0:1], 0x20                      // 000000002A18: C0060600 00000020
	s_load_dwordx2 s[48:49], s[0:1], 0x30                      // 000000002A20: C0060C00 00000030
	s_load_dwordx2 s[28:29], s[0:1], 0x40                      // 000000002A28: C0060700 00000040
	s_load_dwordx2 s[32:33], s[0:1], 0x50                      // 000000002A30: C0060800 00000050
	s_load_dwordx2 s[36:37], s[0:1], 0x60                      // 000000002A38: C0060900 00000060
	s_load_dwordx2 s[12:13], s[0:1], 0x70                      // 000000002A40: C0060300 00000070
	s_load_dwordx2 s[44:45], s[0:1], 0x80                      // 000000002A48: C0060B00 00000080
	s_mov_b32 s89, 0                                           // 000000002A50: BED90080
	s_load_dword s64, s[0:1], 0x90                             // 000000002A54: C0021000 00000090
	s_load_dword s65, s[0:1], 0xa0                             // 000000002A5C: C0021040 000000A0
	s_load_dword s66, s[0:1], 0xb0                             // 000000002A64: C0021080 000000B0
	s_load_dword s67, s[0:1], 0xc0                             // 000000002A6C: C00210C0 000000C0
	s_load_dword s68, s[0:1], 0xd0                             // 000000002A74: C0021100 000000D0
	s_load_dword s69, s[0:1], 0xe0                             // 000000002A7C: C0021140 000000E0
	s_load_dword s71, s[0:1], 0xf0                             // 000000002A84: C00211C0 000000F0
	s_load_dword s72, s[0:1], 0x100                            // 000000002A8C: C0021200 00000100
	s_load_dword s74, s[0:1], 0x110                            // 000000002A94: C0021280 00000110
	s_load_dword s76, s[0:1], 0x120                            // 000000002A9C: C0021300 00000120
	s_load_dword s56, s[0:1], 0x130                            // 000000002AA4: C0020E00 00000130
	s_load_dword s88, s[0:1], 0x140                            // 000000002AAC: C0021600 00000140
	s_load_dword s89, s[0:1], 0x150                            // 000000002AB4: C0021640 00000150
	s_load_dwordx2 s[40:41], s[0:1], 0x160                     // 000000002ABC: C0060A00 00000160
	v_lshrrev_b32_e32 v1, 10, v0                               // 000000002AC4: 2002008A
	v_lshrrev_b32_e32 v2, 10, v1                               // 000000002AC8: 2004028A
	v_and_b32_e32 v2, 0x3ff, v2                                // 000000002ACC: 260404FF 000003FF
	v_and_b32_e32 v1, 0x3ff, v1                                // 000000002AD4: 260202FF 000003FF
	v_and_b32_e32 v0, 0x3ff, v0                                // 000000002ADC: 260000FF 000003FF
	v_lshrrev_b32_e32 v3, 6, v0                                // 000000002AE4: 20060086
	v_and_b32_e32 v0, 63, v0                                   // 000000002AE8: 260000BF
	s_mov_b32 s2, s2                                           // 000000002AEC: BE820002
	s_mov_b32 s3, s3                                           // 000000002AF0: BE830003
	s_mov_b32 s4, s4                                           // 000000002AF4: BE840004
	v_readfirstlane_b32 s7, v3                                 // 000000002AF8: 7E0E0503
	s_waitcnt lgkmcnt(0)                                       // 000000002AFC: BF8CC07F
	s_and_b32 s49, s49, 0xffff                                 // 000000002B00: 8631FF31 0000FFFF
	s_load_dword s48, s[48:49], 0x0                            // 000000002B08: C0020C18 00000000
	s_and_b32 s45, s45, 0xffff                                 // 000000002B10: 862DFF2D 0000FFFF
	s_and_b32 s9, s9, 0xffff                                   // 000000002B18: 8609FF09 0000FFFF
	s_mul_i32 s60, s66, s68                                    // 000000002B20: 923C4442
	s_mul_i32 s61, s66, 4                                      // 000000002B24: 923D8442
	s_mov_b32 s22, s60                                         // 000000002B28: BE96003C
	s_mov_b32 s26, -16                                         // 000000002B2C: BE9A00D0
	s_mov_b32 s30, s61                                         // 000000002B30: BE9E003D
	s_mov_b32 s14, 0x200                                       // 000000002B34: BE8E00FF 00000200
	s_mov_b32 s38, -16                                         // 000000002B3C: BEA600D0
	s_mov_b32 s10, -16                                         // 000000002B40: BE8A00D0
	s_mov_b32 s34, 0x100                                       // 000000002B44: BEA200FF 00000100
	s_mov_b32 s23, 0x20000                                     // 000000002B4C: BE9700FF 00020000
	s_mov_b32 s27, 0x20000                                     // 000000002B54: BE9B00FF 00020000
	s_mov_b32 s31, 0x20000                                     // 000000002B5C: BE9F00FF 00020000
	s_mov_b32 s35, 0x20000                                     // 000000002B64: BEA300FF 00020000
	s_mov_b32 s15, 0x20000                                     // 000000002B6C: BE8F00FF 00020000
	s_mov_b32 s39, 0x20000                                     // 000000002B74: BEA700FF 00020000
	s_mov_b32 s11, 0x20000                                     // 000000002B7C: BE8B00FF 00020000
	s_and_b32 s21, s21, 0xffff                                 // 000000002B84: 8615FF15 0000FFFF
	s_and_b32 s25, s25, 0xffff                                 // 000000002B8C: 8619FF19 0000FFFF
	s_and_b32 s29, s29, 0xffff                                 // 000000002B94: 861DFF1D 0000FFFF
	s_and_b32 s33, s33, 0xffff                                 // 000000002B9C: 8621FF21 0000FFFF
	s_and_b32 s13, s13, 0xffff                                 // 000000002BA4: 860DFF0D 0000FFFF
	s_and_b32 s37, s37, 0xffff                                 // 000000002BAC: 8625FF25 0000FFFF
	s_or_b32 s21, s21, 0x40000                                 // 000000002BB4: 8715FF15 00040000
	s_or_b32 s25, s25, 0x40000                                 // 000000002BBC: 8719FF19 00040000
	s_or_b32 s29, s29, 0x40000                                 // 000000002BC4: 871DFF1D 00040000
	s_or_b32 s33, s33, 0x40000                                 // 000000002BCC: 8721FF21 00040000
	s_or_b32 s13, s13, 0x40000                                 // 000000002BD4: 870DFF0D 00040000
	s_or_b32 s37, s37, 0x40000                                 // 000000002BDC: 8725FF25 00040000
	s_mov_b32 s42, -16                                         // 000000002BE4: BEAA00D0
	s_mov_b32 s43, 0x20000                                     // 000000002BE8: BEAB00FF 00020000
	s_and_b32 s41, s41, 0xffff                                 // 000000002BF0: 8629FF29 0000FFFF
	s_or_b32 s41, s41, 0x40000                                 // 000000002BF8: 8729FF29 00040000
	v_accvgpr_write_b32 a143, 0                                // 000000002C00: D3D9408F 18000080
	v_mov_b32_e32 v151, 0                                      // 000000002C08: 7F2E0280
	s_waitcnt lgkmcnt(0)                                       // 000000002C0C: BF8CC07F
	s_mul_i32 s60, s3, 0x80                                    // 000000002C10: 923CFF03 00000080
	s_cmp_lt_i32 s60, s48                                      // 000000002C18: BF04303C
	s_cbranch_scc0 label_2293                                  // 000000002C1C: BF842208
	s_mov_b32 s80, 0                                           // 000000002C20: BED00080
	s_lshr_b32 s81, s64, s88                                   // 000000002C24: 8F515840
	s_mul_i32 s60, s3, 4                                       // 000000002C28: 923C8403
	s_add_u32 s44, s60, s44                                    // 000000002C2C: 802C2C3C
	s_addc_u32 s45, 0, s45                                     // 000000002C30: 822D2D80
	s_load_dword s5, s[44:45], 0x0                             // 000000002C34: C0020156 00000000
	s_mul_i32 s60, s3, 0x80                                    // 000000002C3C: 923CFF03 00000080
	s_mul_i32 s60, 4, s60                                      // 000000002C44: 923C3C84
	s_add_u32 s12, s60, s12                                    // 000000002C48: 800C0C3C
	s_addc_u32 s13, 0, s13                                     // 000000002C4C: 820D0D80
	v_and_b32_e32 v4, 15, v0                                   // 000000002C50: 2608008F
	v_lshlrev_b32_e32 v4, 2, v4                                // 000000002C54: 24080882
	buffer_load_dword v28, v4, s[12:15], 0 offen               // 000000002C58: E0501000 80031C04
	v_add_u32_e32 v4, 64, v4                                   // 000000002C60: 680808C0
	buffer_load_dword v29, v4, s[12:15], 0 offen               // 000000002C64: E0501000 80031D04
	v_add_u32_e32 v4, 64, v4                                   // 000000002C6C: 680808C0
	buffer_load_dword v30, v4, s[12:15], 0 offen               // 000000002C70: E0501000 80031E04
	v_add_u32_e32 v4, 64, v4                                   // 000000002C78: 680808C0
	buffer_load_dword v31, v4, s[12:15], 0 offen               // 000000002C7C: E0501000 80031F04
	v_add_u32_e32 v4, 64, v4                                   // 000000002C84: 680808C0
	buffer_load_dword v32, v4, s[12:15], 0 offen               // 000000002C88: E0501000 80032004
	v_add_u32_e32 v4, 64, v4                                   // 000000002C90: 680808C0
	buffer_load_dword v33, v4, s[12:15], 0 offen               // 000000002C94: E0501000 80032104
	v_add_u32_e32 v4, 64, v4                                   // 000000002C9C: 680808C0
	buffer_load_dword v34, v4, s[12:15], 0 offen               // 000000002CA0: E0501000 80032204
	v_add_u32_e32 v4, 64, v4                                   // 000000002CA8: 680808C0
	buffer_load_dword v35, v4, s[12:15], 0 offen               // 000000002CAC: E0501000 80032304
	v_add_u32_e32 v4, 64, v4                                   // 000000002CB4: 680808C0
	s_mul_i32 s60, 4, s7                                       // 000000002CB8: 923C0784
	v_lshlrev_b32_e32 v4, 4, v0                                // 000000002CBC: 24080084
	v_add_u32_e32 v4, s60, v4                                  // 000000002CC0: 6808083C
	buffer_load_dword v3, v4, s[12:15], 0 offen                // 000000002CC4: E0501000 80030304
	v_mov_b32_e32 v80, 0                                       // 000000002CCC: 7EA00280
	v_mov_b32_e32 v112, 0                                      // 000000002CD0: 7EE00280
	v_mov_b32_e32 v81, 0                                       // 000000002CD4: 7EA20280
	v_mov_b32_e32 v113, 0                                      // 000000002CD8: 7EE20280
	v_mov_b32_e32 v82, 0                                       // 000000002CDC: 7EA40280
	v_mov_b32_e32 v114, 0                                      // 000000002CE0: 7EE40280
	v_mov_b32_e32 v83, 0                                       // 000000002CE4: 7EA60280
	v_mov_b32_e32 v115, 0                                      // 000000002CE8: 7EE60280
	v_mov_b32_e32 v84, 0                                       // 000000002CEC: 7EA80280
	v_mov_b32_e32 v116, 0                                      // 000000002CF0: 7EE80280
	v_mov_b32_e32 v85, 0                                       // 000000002CF4: 7EAA0280
	v_mov_b32_e32 v117, 0                                      // 000000002CF8: 7EEA0280
	v_mov_b32_e32 v86, 0                                       // 000000002CFC: 7EAC0280
	v_mov_b32_e32 v118, 0                                      // 000000002D00: 7EEC0280
	v_mov_b32_e32 v87, 0                                       // 000000002D04: 7EAE0280
	v_mov_b32_e32 v119, 0                                      // 000000002D08: 7EEE0280
	v_mov_b32_e32 v88, 0                                       // 000000002D0C: 7EB00280
	v_mov_b32_e32 v120, 0                                      // 000000002D10: 7EF00280
	v_mov_b32_e32 v89, 0                                       // 000000002D14: 7EB20280
	v_mov_b32_e32 v121, 0                                      // 000000002D18: 7EF20280
	v_mov_b32_e32 v90, 0                                       // 000000002D1C: 7EB40280
	v_mov_b32_e32 v122, 0                                      // 000000002D20: 7EF40280
	v_mov_b32_e32 v91, 0                                       // 000000002D24: 7EB60280
	v_mov_b32_e32 v123, 0                                      // 000000002D28: 7EF60280
	v_mov_b32_e32 v92, 0                                       // 000000002D2C: 7EB80280
	v_mov_b32_e32 v124, 0                                      // 000000002D30: 7EF80280
	v_mov_b32_e32 v93, 0                                       // 000000002D34: 7EBA0280
	v_mov_b32_e32 v125, 0                                      // 000000002D38: 7EFA0280
	v_mov_b32_e32 v94, 0                                       // 000000002D3C: 7EBC0280
	v_mov_b32_e32 v126, 0                                      // 000000002D40: 7EFC0280
	v_mov_b32_e32 v95, 0                                       // 000000002D44: 7EBE0280
	v_mov_b32_e32 v127, 0                                      // 000000002D48: 7EFE0280
	v_mov_b32_e32 v96, 0                                       // 000000002D4C: 7EC00280
	v_mov_b32_e32 v128, 0                                      // 000000002D50: 7F000280
	v_mov_b32_e32 v97, 0                                       // 000000002D54: 7EC20280
	v_mov_b32_e32 v129, 0                                      // 000000002D58: 7F020280
	v_mov_b32_e32 v98, 0                                       // 000000002D5C: 7EC40280
	v_mov_b32_e32 v130, 0                                      // 000000002D60: 7F040280
	v_mov_b32_e32 v99, 0                                       // 000000002D64: 7EC60280
	v_mov_b32_e32 v131, 0                                      // 000000002D68: 7F060280
	v_mov_b32_e32 v100, 0                                      // 000000002D6C: 7EC80280
	v_mov_b32_e32 v132, 0                                      // 000000002D70: 7F080280
	v_mov_b32_e32 v101, 0                                      // 000000002D74: 7ECA0280
	v_mov_b32_e32 v133, 0                                      // 000000002D78: 7F0A0280
	v_mov_b32_e32 v102, 0                                      // 000000002D7C: 7ECC0280
	v_mov_b32_e32 v134, 0                                      // 000000002D80: 7F0C0280
	v_mov_b32_e32 v103, 0                                      // 000000002D84: 7ECE0280
	v_mov_b32_e32 v135, 0                                      // 000000002D88: 7F0E0280
	v_mov_b32_e32 v104, 0                                      // 000000002D8C: 7ED00280
	v_mov_b32_e32 v136, 0                                      // 000000002D90: 7F100280
	v_mov_b32_e32 v105, 0                                      // 000000002D94: 7ED20280
	v_mov_b32_e32 v137, 0                                      // 000000002D98: 7F120280
	v_mov_b32_e32 v106, 0                                      // 000000002D9C: 7ED40280
	v_mov_b32_e32 v138, 0                                      // 000000002DA0: 7F140280
	v_mov_b32_e32 v107, 0                                      // 000000002DA4: 7ED60280
	v_mov_b32_e32 v139, 0                                      // 000000002DA8: 7F160280
	v_mov_b32_e32 v108, 0                                      // 000000002DAC: 7ED80280
	v_mov_b32_e32 v140, 0                                      // 000000002DB0: 7F180280
	v_mov_b32_e32 v109, 0                                      // 000000002DB4: 7EDA0280
	v_mov_b32_e32 v141, 0                                      // 000000002DB8: 7F1A0280
	v_mov_b32_e32 v110, 0                                      // 000000002DBC: 7EDC0280
	v_mov_b32_e32 v142, 0                                      // 000000002DC0: 7F1C0280
	v_mov_b32_e32 v111, 0                                      // 000000002DC4: 7EDE0280
	v_mov_b32_e32 v143, 0                                      // 000000002DC8: 7F1E0280
	s_mul_i32 s60, s2, 0x80                                    // 000000002DCC: 923CFF02 00000080
	s_cmp_eq_u32 s88, 0                                        // 000000002DD4: BF068058
	s_cselect_b32 s61, 1, 2                                    // 000000002DD8: 853D8281
	s_mul_i32 s60, s60, s61                                    // 000000002DDC: 923C3D3C
	s_mov_b32 s90, s8                                          // 000000002DE0: BEDA0008
	s_mov_b32 s91, s9                                          // 000000002DE4: BEDB0009
	s_add_u32 s8, s60, s8                                      // 000000002DE8: 8008083C
	s_addc_u32 s9, 0, s9                                       // 000000002DEC: 82090980
	v_lshrrev_b32_e32 v4, 4, v0                                // 000000002DF0: 20080084
	v_mul_lo_u32 v20, 34, v4                                   // 000000002DF4: D2850014 000208A2
	v_and_b32_e32 v4, 15, v0                                   // 000000002DFC: 2608008F
	v_mul_lo_u32 v5, 2, v4                                     // 000000002E00: D2850005 00020882
	v_add_u32_e32 v20, v5, v20                                 // 000000002E08: 68282905
	s_mul_i32 s60, s7, 0x88                                    // 000000002E0C: 923CFF07 00000088
	v_add_u32_e32 v20, s60, v20                                // 000000002E14: 6828283C
	v_lshlrev_b32_e32 v20, 2, v20                              // 000000002E18: 24282882
	v_and_b32_e32 v4, 31, v0                                   // 000000002E1C: 2608009F
	v_lshrrev_b32_e32 v4, 1, v4                                // 000000002E20: 20080881
	v_mul_lo_u32 v21, 34, v4                                   // 000000002E24: D2850015 000208A2
	v_lshrrev_b32_e32 v4, 5, v0                                // 000000002E2C: 20080085
	v_mul_lo_u32 v4, 8, v4                                     // 000000002E30: D2850004 00020888
	v_add_u32_e32 v21, v21, v4                                 // 000000002E38: 682A0915
	v_and_b32_e32 v5, 1, v0                                    // 000000002E3C: 260A0081
	v_add_u32_e32 v21, v5, v21                                 // 000000002E40: 682A2B05
	s_mul_i32 s60, s7, 2                                       // 000000002E44: 923C8207
	v_add_u32_e32 v21, s60, v21                                // 000000002E48: 682A2A3C
	v_lshlrev_b32_e32 v21, 2, v21                              // 000000002E4C: 242A2A82
	s_mul_i32 s60, s7, 0x1020                                  // 000000002E50: 923CFF07 00001020
	s_add_u32 s48, 0, s60                                      // 000000002E58: 80303C80
	s_add_u32 s49, 0x4080, s48                                 // 000000002E5C: 803130FF 00004080
	v_lshrrev_b32_e32 v4, 4, v0                                // 000000002E64: 20080084
	v_lshlrev_b32_e32 v5, 2, v4                                // 000000002E68: 240A0882
	v_and_b32_e32 v4, 15, v0                                   // 000000002E6C: 2608008F
	v_lshrrev_b32_e32 v6, 2, v4                                // 000000002E70: 200C0882
	v_lshlrev_b32_e32 v6, 5, v6                                // 000000002E74: 240C0C85
	v_add_u32_e32 v5, v6, v5                                   // 000000002E78: 680A0B06
	v_and_b32_e32 v4, 3, v0                                    // 000000002E7C: 26080083
	v_mul_u32_u24_e32 v6, 0x408, v4                            // 000000002E80: 100C08FF 00000408
	v_add_u32_e32 v5, v6, v5                                   // 000000002E88: 680A0B06
	v_lshlrev_b32_e32 v2, 2, v5                                // 000000002E8C: 24040A82
	s_waitcnt lgkmcnt(0)                                       // 000000002E90: BF8CC07F
	s_mul_i32 s60, s2, 64                                      // 000000002E94: 923CC002
	s_mul_i32 s60, s60, s69                                    // 000000002E98: 923C453C
	s_mul_i32 s61, s5, s72                                     // 000000002E9C: 923D4805
	s_add_u32 s60, s61, s60                                    // 000000002EA0: 803C3C3D
	s_add_u32 s24, s60, s24                                    // 000000002EA4: 8018183C
	s_addc_u32 s25, 0, s25                                     // 000000002EA8: 82191980
	s_lshr_b32 s60, s64, s88                                   // 000000002EAC: 8F3C5840
	s_mul_i32 s60, s4, s60                                     // 000000002EB0: 923C3C04
	s_lshr_b32 s60, s60, 7                                     // 000000002EB4: 8F3C873C
	s_mul_i32 s60, s60, 0x800                                  // 000000002EB8: 923CFF3C 00000800
	s_add_u32 s24, s60, s24                                    // 000000002EC0: 8018183C
	s_addc_u32 s25, 0, s25                                     // 000000002EC4: 82191980
	s_lshr_b32 s60, s69, s88                                   // 000000002EC8: 8F3C5845
	s_mul_i32 s60, s4, s60                                     // 000000002ECC: 923C3C04
	s_add_u32 s20, s60, s20                                    // 000000002ED0: 8014143C
	s_addc_u32 s21, 0, s21                                     // 000000002ED4: 82151580
	s_mul_i32 s60, s7, 16                                      // 000000002ED8: 923C9007
	s_mul_i32 s60, s60, s69                                    // 000000002EDC: 923C453C
	v_lshlrev_b32_e32 v76, 4, v0                               // 000000002EE0: 24980084
	v_add_u32_e32 v76, s60, v76                                // 000000002EE4: 6898983C
	s_mul_i32 s60, 64, s69                                     // 000000002EE8: 923C45C0
	s_mov_b32 s84, s24                                         // 000000002EEC: BED40018
	s_mov_b32 s85, s25                                         // 000000002EF0: BED50019
	s_mov_b32 s86, s26                                         // 000000002EF4: BED6001A
	s_mov_b32 s87, s27                                         // 000000002EF8: BED7001B
	s_mul_i32 s60, s69, s65                                    // 000000002EFC: 923C4145
	s_add_u32 s84, s60, s84                                    // 000000002F00: 8054543C
	s_addc_u32 s85, 0, s85                                     // 000000002F04: 82555580
	v_lshrrev_b32_e32 v4, 4, v0                                // 000000002F08: 20080084
	v_lshlrev_b32_e32 v5, 2, v4                                // 000000002F0C: 240A0882
	v_and_b32_e32 v4, 15, v0                                   // 000000002F10: 2608008F
	v_lshrrev_b32_e32 v6, 2, v4                                // 000000002F14: 200C0882
	v_lshlrev_b32_e32 v6, 6, v6                                // 000000002F18: 240C0C86
	v_add_u32_e32 v5, v6, v5                                   // 000000002F1C: 680A0B06
	v_and_b32_e32 v4, 3, v0                                    // 000000002F20: 26080083
	v_add_u32_e32 v5, v4, v5                                   // 000000002F24: 680A0B04
	v_lshlrev_b32_e32 v22, 2, v5                               // 000000002F28: 242C0A82
	s_mul_i32 s60, s7, 16                                      // 000000002F2C: 923C9007
	s_mul_i32 s60, s60, 4                                      // 000000002F30: 923C843C
	v_add_u32_e32 v22, s60, v22                                // 000000002F34: 682C2C3C
	s_mul_i32 s60, s2, 64                                      // 000000002F38: 923CC002
	s_mul_i32 s60, s60, 4                                      // 000000002F3C: 923C843C
	s_mul_i32 s61, s5, s74                                     // 000000002F40: 923D4A05
	s_add_u32 s61, s61, s60                                    // 000000002F44: 803D3C3D
	s_add_u32 s32, s61, s32                                    // 000000002F48: 8020203D
	s_addc_u32 s33, 0, s33                                     // 000000002F4C: 82212180
	s_mov_b32 s57, 0x80                                        // 000000002F50: BEB900FF 00000080
	s_mov_b32 s58, 0x800                                       // 000000002F58: BEBA00FF 00000800
	s_mov_b32 s83, s58                                         // 000000002F60: BED3003A
	s_mov_b32 s52, 0x7060302                                   // 000000002F64: BEB400FF 07060302
	s_mov_b32 s53, 0x400                                       // 000000002F6C: BEB500FF 00000400
	s_mov_b32 s54, 0x40100                                     // 000000002F74: BEB600FF 00040100
	s_mov_b32 s55, 0x4020100                                   // 000000002F7C: BEB700FF 04020100
	s_mov_b32 s6, 0x3fb8aa3b                                   // 000000002F84: BE8600FF 3FB8AA3B
	s_mov_b32 s78, 0xbd92220c                                  // 000000002F8C: BECE00FF BD92220C
	s_mov_b32 s79, 0xbd92220c                                  // 000000002F94: BECF00FF BD92220C
	s_mov_b32 m0, s48                                          // 000000002F9C: BEFC0030
	v_mov_b32_e32 v1, 0xbfcc4231                               // 000000002FA0: 7E0202FF BFCC4231
	v_mov_b32_e32 v17, 0xffff0000                              // 000000002FA8: 7E2202FF FFFF0000
	v_mov_b32_e32 v18, 0x7fff0000                              // 000000002FB0: 7E2402FF 7FFF0000
	v_mov_b32_e32 v19, 0x7fff                                  // 000000002FB8: 7E2602FF 00007FFF
	s_waitcnt vmcnt(0) expcnt(0) lgkmcnt(0)                    // 000000002FC0: BF8C0000
	s_mul_i32 s60, s3, 0x80                                    // 000000002FC4: 923CFF03 00000080
	s_mul_i32 s60, 4, s60                                      // 000000002FCC: 923C3C84
	s_add_u32 s40, s60, s40                                    // 000000002FD0: 8028283C
	s_addc_u32 s41, 0, s41                                     // 000000002FD4: 82292980
	v_and_b32_e32 v4, 15, v0                                   // 000000002FD8: 2608008F
	v_lshlrev_b32_e32 v4, 2, v4                                // 000000002FDC: 24080882
	buffer_load_dword v144, v4, s[40:43], 0 offen              // 000000002FE0: E0501000 800A9004
	buffer_load_dword v145, v4, s[40:43], 0 offen offset:64    // 000000002FE8: E0501040 800A9104
	buffer_load_dword v146, v4, s[40:43], 0 offen offset:128   // 000000002FF0: E0501080 800A9204
	buffer_load_dword v147, v4, s[40:43], 0 offen offset:192   // 000000002FF8: E05010C0 800A9304
	buffer_load_dword v148, v4, s[40:43], 0 offen offset:256   // 000000003000: E0501100 800A9404
	buffer_load_dword v149, v4, s[40:43], 0 offen offset:320   // 000000003008: E0501140 800A9504
	buffer_load_dword v150, v4, s[40:43], 0 offen offset:384   // 000000003010: E0501180 800A9604
	buffer_load_dword v151, v4, s[40:43], 0 offen offset:448   // 000000003018: E05011C0 800A9704
	v_lshrrev_b32_e32 v4, 5, v0                                // 000000003020: 20080085
	v_xor_b32_e32 v5, 1, v4                                    // 000000003024: 2A0A0881
	v_readlane_b32 s82, v3, 0                                  // 000000003028: D2890052 00010103
	s_and_b32 s82, s82, 0xffffff                               // 000000003030: 8652FF52 00FFFFFF
	v_mul_lo_u32 v6, v5, s82                                   // 000000003038: D2850006 0000A505
	v_readlane_b32 s82, v3, 1                                  // 000000003040: D2890052 00010303
	s_and_b32 s82, s82, 0xffffff                               // 000000003048: 8652FF52 00FFFFFF
	v_mul_lo_u32 v7, v4, s82                                   // 000000003050: D2850007 0000A504
	v_add_u32_e32 v60, v6, v7                                  // 000000003058: 68780F06
	v_mul_lo_u32 v60, v60, s68                                 // 00000000305C: D285003C 0000893C
	v_readlane_b32 s82, v3, 2                                  // 000000003064: D2890052 00010503
	s_and_b32 s82, s82, 0xffffff                               // 00000000306C: 8652FF52 00FFFFFF
	v_mul_lo_u32 v6, v5, s82                                   // 000000003074: D2850006 0000A505
	v_readlane_b32 s82, v3, 3                                  // 00000000307C: D2890052 00010703
	s_and_b32 s82, s82, 0xffffff                               // 000000003084: 8652FF52 00FFFFFF
	v_mul_lo_u32 v7, v4, s82                                   // 00000000308C: D2850007 0000A504
	v_add_u32_e32 v61, v6, v7                                  // 000000003094: 687A0F06
	v_mul_lo_u32 v61, v61, s68                                 // 000000003098: D285003D 0000893D
	v_readlane_b32 s82, v3, 4                                  // 0000000030A0: D2890052 00010903
	s_and_b32 s82, s82, 0xffffff                               // 0000000030A8: 8652FF52 00FFFFFF
	v_mul_lo_u32 v6, v5, s82                                   // 0000000030B0: D2850006 0000A505
	v_readlane_b32 s82, v3, 5                                  // 0000000030B8: D2890052 00010B03
	s_and_b32 s82, s82, 0xffffff                               // 0000000030C0: 8652FF52 00FFFFFF
	v_mul_lo_u32 v7, v4, s82                                   // 0000000030C8: D2850007 0000A504
	v_add_u32_e32 v62, v6, v7                                  // 0000000030D0: 687C0F06
	v_mul_lo_u32 v62, v62, s68                                 // 0000000030D4: D285003E 0000893E
	v_readlane_b32 s82, v3, 6                                  // 0000000030DC: D2890052 00010D03
	s_and_b32 s82, s82, 0xffffff                               // 0000000030E4: 8652FF52 00FFFFFF
	v_mul_lo_u32 v6, v5, s82                                   // 0000000030EC: D2850006 0000A505
	v_readlane_b32 s82, v3, 7                                  // 0000000030F4: D2890052 00010F03
	s_and_b32 s82, s82, 0xffffff                               // 0000000030FC: 8652FF52 00FFFFFF
	v_mul_lo_u32 v7, v4, s82                                   // 000000003104: D2850007 0000A504
	v_add_u32_e32 v63, v6, v7                                  // 00000000310C: 687E0F06
	v_mul_lo_u32 v63, v63, s68                                 // 000000003110: D285003F 0000893F
	v_readlane_b32 s82, v3, 8                                  // 000000003118: D2890052 00011103
	s_and_b32 s82, s82, 0xffffff                               // 000000003120: 8652FF52 00FFFFFF
	v_mul_lo_u32 v6, v5, s82                                   // 000000003128: D2850006 0000A505
	v_readlane_b32 s82, v3, 9                                  // 000000003130: D2890052 00011303
	s_and_b32 s82, s82, 0xffffff                               // 000000003138: 8652FF52 00FFFFFF
	v_mul_lo_u32 v7, v4, s82                                   // 000000003140: D2850007 0000A504
	v_add_u32_e32 v64, v6, v7                                  // 000000003148: 68800F06
	v_mul_lo_u32 v64, v64, s68                                 // 00000000314C: D2850040 00008940
	v_readlane_b32 s82, v3, 10                                 // 000000003154: D2890052 00011503
	s_and_b32 s82, s82, 0xffffff                               // 00000000315C: 8652FF52 00FFFFFF
	v_mul_lo_u32 v6, v5, s82                                   // 000000003164: D2850006 0000A505
	v_readlane_b32 s82, v3, 11                                 // 00000000316C: D2890052 00011703
	s_and_b32 s82, s82, 0xffffff                               // 000000003174: 8652FF52 00FFFFFF
	v_mul_lo_u32 v7, v4, s82                                   // 00000000317C: D2850007 0000A504
	v_add_u32_e32 v65, v6, v7                                  // 000000003184: 68820F06
	v_mul_lo_u32 v65, v65, s68                                 // 000000003188: D2850041 00008941
	v_readlane_b32 s82, v3, 12                                 // 000000003190: D2890052 00011903
	s_and_b32 s82, s82, 0xffffff                               // 000000003198: 8652FF52 00FFFFFF
	v_mul_lo_u32 v6, v5, s82                                   // 0000000031A0: D2850006 0000A505
	v_readlane_b32 s82, v3, 13                                 // 0000000031A8: D2890052 00011B03
	s_and_b32 s82, s82, 0xffffff                               // 0000000031B0: 8652FF52 00FFFFFF
	v_mul_lo_u32 v7, v4, s82                                   // 0000000031B8: D2850007 0000A504
	v_add_u32_e32 v66, v6, v7                                  // 0000000031C0: 68840F06
	v_mul_lo_u32 v66, v66, s68                                 // 0000000031C4: D2850042 00008942
	v_readlane_b32 s82, v3, 14                                 // 0000000031CC: D2890052 00011D03
	s_and_b32 s82, s82, 0xffffff                               // 0000000031D4: 8652FF52 00FFFFFF
	v_mul_lo_u32 v6, v5, s82                                   // 0000000031DC: D2850006 0000A505
	v_readlane_b32 s82, v3, 15                                 // 0000000031E4: D2890052 00011F03
	s_and_b32 s82, s82, 0xffffff                               // 0000000031EC: 8652FF52 00FFFFFF
	v_mul_lo_u32 v7, v4, s82                                   // 0000000031F4: D2850007 0000A504
	v_add_u32_e32 v67, v6, v7                                  // 0000000031FC: 68860F06
	v_mul_lo_u32 v67, v67, s68                                 // 000000003200: D2850043 00008943
	v_readlane_b32 s82, v3, 16                                 // 000000003208: D2890052 00012103
	s_and_b32 s82, s82, 0xffffff                               // 000000003210: 8652FF52 00FFFFFF
	v_mul_lo_u32 v6, v5, s82                                   // 000000003218: D2850006 0000A505
	v_readlane_b32 s82, v3, 17                                 // 000000003220: D2890052 00012303
	s_and_b32 s82, s82, 0xffffff                               // 000000003228: 8652FF52 00FFFFFF
	v_mul_lo_u32 v7, v4, s82                                   // 000000003230: D2850007 0000A504
	v_add_u32_e32 v68, v6, v7                                  // 000000003238: 68880F06
	v_mul_lo_u32 v68, v68, s68                                 // 00000000323C: D2850044 00008944
	v_readlane_b32 s82, v3, 18                                 // 000000003244: D2890052 00012503
	s_and_b32 s82, s82, 0xffffff                               // 00000000324C: 8652FF52 00FFFFFF
	v_mul_lo_u32 v6, v5, s82                                   // 000000003254: D2850006 0000A505
	v_readlane_b32 s82, v3, 19                                 // 00000000325C: D2890052 00012703
	s_and_b32 s82, s82, 0xffffff                               // 000000003264: 8652FF52 00FFFFFF
	v_mul_lo_u32 v7, v4, s82                                   // 00000000326C: D2850007 0000A504
	v_add_u32_e32 v69, v6, v7                                  // 000000003274: 688A0F06
	v_mul_lo_u32 v69, v69, s68                                 // 000000003278: D2850045 00008945
	v_readlane_b32 s82, v3, 20                                 // 000000003280: D2890052 00012903
	s_and_b32 s82, s82, 0xffffff                               // 000000003288: 8652FF52 00FFFFFF
	v_mul_lo_u32 v6, v5, s82                                   // 000000003290: D2850006 0000A505
	v_readlane_b32 s82, v3, 21                                 // 000000003298: D2890052 00012B03
	s_and_b32 s82, s82, 0xffffff                               // 0000000032A0: 8652FF52 00FFFFFF
	v_mul_lo_u32 v7, v4, s82                                   // 0000000032A8: D2850007 0000A504
	v_add_u32_e32 v70, v6, v7                                  // 0000000032B0: 688C0F06
	v_mul_lo_u32 v70, v70, s68                                 // 0000000032B4: D2850046 00008946
	v_readlane_b32 s82, v3, 22                                 // 0000000032BC: D2890052 00012D03
	s_and_b32 s82, s82, 0xffffff                               // 0000000032C4: 8652FF52 00FFFFFF
	v_mul_lo_u32 v6, v5, s82                                   // 0000000032CC: D2850006 0000A505
	v_readlane_b32 s82, v3, 23                                 // 0000000032D4: D2890052 00012F03
	s_and_b32 s82, s82, 0xffffff                               // 0000000032DC: 8652FF52 00FFFFFF
	v_mul_lo_u32 v7, v4, s82                                   // 0000000032E4: D2850007 0000A504
	v_add_u32_e32 v71, v6, v7                                  // 0000000032EC: 688E0F06
	v_mul_lo_u32 v71, v71, s68                                 // 0000000032F0: D2850047 00008947
	v_readlane_b32 s82, v3, 24                                 // 0000000032F8: D2890052 00013103
	s_and_b32 s82, s82, 0xffffff                               // 000000003300: 8652FF52 00FFFFFF
	v_mul_lo_u32 v6, v5, s82                                   // 000000003308: D2850006 0000A505
	v_readlane_b32 s82, v3, 25                                 // 000000003310: D2890052 00013303
	s_and_b32 s82, s82, 0xffffff                               // 000000003318: 8652FF52 00FFFFFF
	v_mul_lo_u32 v7, v4, s82                                   // 000000003320: D2850007 0000A504
	v_add_u32_e32 v72, v6, v7                                  // 000000003328: 68900F06
	v_mul_lo_u32 v72, v72, s68                                 // 00000000332C: D2850048 00008948
	v_readlane_b32 s82, v3, 26                                 // 000000003334: D2890052 00013503
	s_and_b32 s82, s82, 0xffffff                               // 00000000333C: 8652FF52 00FFFFFF
	v_mul_lo_u32 v6, v5, s82                                   // 000000003344: D2850006 0000A505
	v_readlane_b32 s82, v3, 27                                 // 00000000334C: D2890052 00013703
	s_and_b32 s82, s82, 0xffffff                               // 000000003354: 8652FF52 00FFFFFF
	v_mul_lo_u32 v7, v4, s82                                   // 00000000335C: D2850007 0000A504
	v_add_u32_e32 v73, v6, v7                                  // 000000003364: 68920F06
	v_mul_lo_u32 v73, v73, s68                                 // 000000003368: D2850049 00008949
	v_readlane_b32 s82, v3, 28                                 // 000000003370: D2890052 00013903
	s_and_b32 s82, s82, 0xffffff                               // 000000003378: 8652FF52 00FFFFFF
	v_mul_lo_u32 v6, v5, s82                                   // 000000003380: D2850006 0000A505
	v_readlane_b32 s82, v3, 29                                 // 000000003388: D2890052 00013B03
	s_and_b32 s82, s82, 0xffffff                               // 000000003390: 8652FF52 00FFFFFF
	v_mul_lo_u32 v7, v4, s82                                   // 000000003398: D2850007 0000A504
	v_add_u32_e32 v74, v6, v7                                  // 0000000033A0: 68940F06
	v_mul_lo_u32 v74, v74, s68                                 // 0000000033A4: D285004A 0000894A
	v_readlane_b32 s82, v3, 30                                 // 0000000033AC: D2890052 00013D03
	s_and_b32 s82, s82, 0xffffff                               // 0000000033B4: 8652FF52 00FFFFFF
	v_mul_lo_u32 v6, v5, s82                                   // 0000000033BC: D2850006 0000A505
	v_readlane_b32 s82, v3, 31                                 // 0000000033C4: D2890052 00013F03
	s_and_b32 s82, s82, 0xffffff                               // 0000000033CC: 8652FF52 00FFFFFF
	v_mul_lo_u32 v7, v4, s82                                   // 0000000033D4: D2850007 0000A504
	v_add_u32_e32 v75, v6, v7                                  // 0000000033DC: 68960F06
	v_mul_lo_u32 v75, v75, s68                                 // 0000000033E0: D285004B 0000894B
	v_and_b32_e32 v4, 31, v0                                   // 0000000033E8: 2608009F
	v_lshlrev_b32_e32 v4, 2, v4                                // 0000000033EC: 24080882
	v_add_u32_e32 v60, v60, v4                                 // 0000000033F0: 6878093C
	v_add_u32_e32 v61, v61, v4                                 // 0000000033F4: 687A093D
	v_add_u32_e32 v62, v62, v4                                 // 0000000033F8: 687C093E
	v_add_u32_e32 v63, v63, v4                                 // 0000000033FC: 687E093F
	v_add_u32_e32 v64, v64, v4                                 // 000000003400: 68800940
	v_add_u32_e32 v65, v65, v4                                 // 000000003404: 68820941
	;; [unrolled: 1-line block ×3, first 2 shown]
	v_add_u32_e32 v67, v67, v4                                 // 00000000340C: 68860943
	v_add_u32_e32 v68, v68, v4                                 // 000000003410: 68880944
	v_add_u32_e32 v69, v69, v4                                 // 000000003414: 688A0945
	v_add_u32_e32 v70, v70, v4                                 // 000000003418: 688C0946
	v_add_u32_e32 v71, v71, v4                                 // 00000000341C: 688E0947
	v_add_u32_e32 v72, v72, v4                                 // 000000003420: 68900948
	v_add_u32_e32 v73, v73, v4                                 // 000000003424: 68920949
	v_add_u32_e32 v74, v74, v4                                 // 000000003428: 6894094A
	v_add_u32_e32 v75, v75, v4                                 // 00000000342C: 6896094B
	v_and_b32_e32 v28, 0xffffff, v28                           // 000000003430: 263838FF 00FFFFFF
	v_lshlrev_b32_e32 v28, 2, v28                              // 000000003438: 24383882
	v_and_b32_e32 v29, 0xffffff, v29                           // 00000000343C: 263A3AFF 00FFFFFF
	v_lshlrev_b32_e32 v29, 2, v29                              // 000000003444: 243A3A82
	v_and_b32_e32 v30, 0xffffff, v30                           // 000000003448: 263C3CFF 00FFFFFF
	v_lshlrev_b32_e32 v30, 2, v30                              // 000000003450: 243C3C82
	v_and_b32_e32 v31, 0xffffff, v31                           // 000000003454: 263E3EFF 00FFFFFF
	v_lshlrev_b32_e32 v31, 2, v31                              // 00000000345C: 243E3E82
	v_and_b32_e32 v32, 0xffffff, v32                           // 000000003460: 264040FF 00FFFFFF
	v_lshlrev_b32_e32 v32, 2, v32                              // 000000003468: 24404082
	v_and_b32_e32 v33, 0xffffff, v33                           // 00000000346C: 264242FF 00FFFFFF
	v_lshlrev_b32_e32 v33, 2, v33                              // 000000003474: 24424282
	v_and_b32_e32 v34, 0xffffff, v34                           // 000000003478: 264444FF 00FFFFFF
	v_lshlrev_b32_e32 v34, 2, v34                              // 000000003480: 24444482
	v_and_b32_e32 v35, 0xffffff, v35                           // 000000003484: 264646FF 00FFFFFF
	v_lshlrev_b32_e32 v35, 2, v35                              // 00000000348C: 24464682
	s_lshl_b32 s3, s66, 2                                      // 000000003490: 8E038242
	buffer_load_dword v36, v28, s[28:31], 0 offen              // 000000003494: E0501000 8007241C
	buffer_load_dword v37, v29, s[28:31], 0 offen              // 00000000349C: E0501000 8007251D
	buffer_load_dword v38, v30, s[28:31], 0 offen              // 0000000034A4: E0501000 8007261E
	buffer_load_dword v39, v31, s[28:31], 0 offen              // 0000000034AC: E0501000 8007271F
	buffer_load_dword v40, v32, s[28:31], 0 offen              // 0000000034B4: E0501000 80072820
	buffer_load_dword v41, v33, s[28:31], 0 offen              // 0000000034BC: E0501000 80072921
	buffer_load_dword v42, v34, s[28:31], 0 offen              // 0000000034C4: E0501000 80072A22
	buffer_load_dword v43, v35, s[28:31], 0 offen              // 0000000034CC: E0501000 80072B23
	buffer_load_dword v24, v22, s[32:35], 0 offen              // 0000000034D4: E0501000 80081816
	s_mul_i32 s60, 4, s65                                      // 0000000034DC: 923C4184
	s_add_u32 s32, s60, s32                                    // 0000000034E0: 8020203C
	s_addc_u32 s33, 0, s33                                     // 0000000034E4: 82212180
	buffer_load_dword v26, v22, s[32:35], 0 offen              // 0000000034E8: E0501000 80081A16
	buffer_load_dword v60, s[20:23], 0 offen lds               // 0000000034F0: E0511000 8005003C
	s_add_u32 m0, 0x100, s48                                   // 0000000034F8: 807C30FF 00000100
	buffer_load_dword v61, s[20:23], 0 offen lds               // 000000003500: E0511000 8005003D
	s_add_u32 m0, 0x200, s48                                   // 000000003508: 807C30FF 00000200
	buffer_load_dword v62, s[20:23], 0 offen lds               // 000000003510: E0511000 8005003E
	s_add_u32 m0, 0x300, s48                                   // 000000003518: 807C30FF 00000300
	buffer_load_dword v63, s[20:23], 0 offen lds               // 000000003520: E0511000 8005003F
	s_add_u32 m0, 0x400, s48                                   // 000000003528: 807C30FF 00000400
	buffer_load_dword v64, s[20:23], 0 offen lds               // 000000003530: E0511000 80050040
	s_add_u32 m0, 0x500, s48                                   // 000000003538: 807C30FF 00000500
	buffer_load_dword v65, s[20:23], 0 offen lds               // 000000003540: E0511000 80050041
	;; [unrolled: 2-line block ×6, first 2 shown]
	s_add_u32 m0, 0xa00, s48                                   // 000000003588: 807C30FF 00000A00
	buffer_load_dword v70, s[20:23], 0 offen lds               // 000000003590: E0511000 80050046
	s_add_u32 m0, 0xb00, s48                                   // 000000003598: 807C30FF 00000B00
	buffer_load_dword v71, s[20:23], 0 offen lds               // 0000000035A0: E0511000 80050047
	s_add_u32 m0, 0xc00, s48                                   // 0000000035A8: 807C30FF 00000C00
	buffer_load_dword v72, s[20:23], 0 offen lds               // 0000000035B0: E0511000 80050048
	s_add_u32 m0, 0xd00, s48                                   // 0000000035B8: 807C30FF 00000D00
	buffer_load_dword v73, s[20:23], 0 offen lds               // 0000000035C0: E0511000 80050049
	s_add_u32 m0, 0xe00, s48                                   // 0000000035C8: 807C30FF 00000E00
	buffer_load_dword v74, s[20:23], 0 offen lds               // 0000000035D0: E0511000 8005004A
	s_add_u32 m0, 0xf00, s48                                   // 0000000035D8: 807C30FF 00000F00
	buffer_load_dword v75, s[20:23], 0 offen lds               // 0000000035E0: E0511000 8005004B
	s_add_u32 m0, 0, s49                                       // 0000000035E8: 807C3180
	s_add_u32 s20, s57, s20                                    // 0000000035EC: 80141439
	s_addc_u32 s21, 0, s21                                     // 0000000035F0: 82151580
	buffer_load_dword v60, s[20:23], 0 offen lds               // 0000000035F4: E0511000 8005003C
	s_add_u32 m0, 0x100, s49                                   // 0000000035FC: 807C31FF 00000100
	buffer_load_dword v61, s[20:23], 0 offen lds               // 000000003604: E0511000 8005003D
	s_add_u32 m0, 0x200, s49                                   // 00000000360C: 807C31FF 00000200
	buffer_load_dword v62, s[20:23], 0 offen lds               // 000000003614: E0511000 8005003E
	s_add_u32 m0, 0x300, s49                                   // 00000000361C: 807C31FF 00000300
	buffer_load_dword v63, s[20:23], 0 offen lds               // 000000003624: E0511000 8005003F
	s_add_u32 m0, 0x400, s49                                   // 00000000362C: 807C31FF 00000400
	buffer_load_dword v64, s[20:23], 0 offen lds               // 000000003634: E0511000 80050040
	s_add_u32 m0, 0x500, s49                                   // 00000000363C: 807C31FF 00000500
	buffer_load_dword v65, s[20:23], 0 offen lds               // 000000003644: E0511000 80050041
	s_add_u32 m0, 0x600, s49                                   // 00000000364C: 807C31FF 00000600
	buffer_load_dword v66, s[20:23], 0 offen lds               // 000000003654: E0511000 80050042
	s_add_u32 m0, 0x700, s49                                   // 00000000365C: 807C31FF 00000700
	buffer_load_dword v67, s[20:23], 0 offen lds               // 000000003664: E0511000 80050043
	s_add_u32 m0, 0x800, s49                                   // 00000000366C: 807C31FF 00000800
	buffer_load_dword v68, s[20:23], 0 offen lds               // 000000003674: E0511000 80050044
	s_add_u32 m0, 0x900, s49                                   // 00000000367C: 807C31FF 00000900
	buffer_load_dword v69, s[20:23], 0 offen lds               // 000000003684: E0511000 80050045
	s_add_u32 m0, 0xa00, s49                                   // 00000000368C: 807C31FF 00000A00
	buffer_load_dword v70, s[20:23], 0 offen lds               // 000000003694: E0511000 80050046
	s_add_u32 m0, 0xb00, s49                                   // 00000000369C: 807C31FF 00000B00
	buffer_load_dword v71, s[20:23], 0 offen lds               // 0000000036A4: E0511000 80050047
	s_add_u32 m0, 0xc00, s49                                   // 0000000036AC: 807C31FF 00000C00
	buffer_load_dword v72, s[20:23], 0 offen lds               // 0000000036B4: E0511000 80050048
	s_add_u32 m0, 0xd00, s49                                   // 0000000036BC: 807C31FF 00000D00
	buffer_load_dword v73, s[20:23], 0 offen lds               // 0000000036C4: E0511000 80050049
	s_add_u32 m0, 0xe00, s49                                   // 0000000036CC: 807C31FF 00000E00
	buffer_load_dword v74, s[20:23], 0 offen lds               // 0000000036D4: E0511000 8005004A
	s_add_u32 m0, 0xf00, s49                                   // 0000000036DC: 807C31FF 00000F00
	buffer_load_dword v75, s[20:23], 0 offen lds               // 0000000036E4: E0511000 8005004B
	s_add_u32 m0, 0, s48                                       // 0000000036EC: 807C3080
	s_add_u32 s20, s57, s20                                    // 0000000036F0: 80141439
	s_addc_u32 s21, 0, s21                                     // 0000000036F4: 82151580
	buffer_load_dwordx4 a[128:131], v76, s[24:27], 0 offen     // 0000000036F8: E05C1000 8086804C
	buffer_load_dwordx4 a[132:135], v76, s[24:27], 0 offen offset:1024// 000000003700: E05C1400 8086844C
	s_add_u32 s24, s58, s24                                    // 000000003708: 8018183A
	s_addc_u32 s25, 0, s25                                     // 00000000370C: 82191980
	s_waitcnt vmcnt(18)                                        // 000000003710: BF8C4F72
	s_barrier                                                  // 000000003714: BF8A0000
	ds_read_b128 a[0:3], v2                                    // 000000003718: DBFE0000 00000002
	ds_read_b128 a[4:7], v2 offset:64                          // 000000003720: DBFE0040 04000002
	ds_read_b128 a[8:11], v2 offset:512                        // 000000003728: DBFE0200 08000002
	ds_read_b128 a[12:15], v2 offset:576                       // 000000003730: DBFE0240 0C000002
	ds_read_b128 a[16:19], v2 offset:1024                      // 000000003738: DBFE0400 10000002
	ds_read_b128 a[20:23], v2 offset:1088                      // 000000003740: DBFE0440 14000002
	ds_read_b128 a[24:27], v2 offset:1536                      // 000000003748: DBFE0600 18000002
	ds_read_b128 a[28:31], v2 offset:1600                      // 000000003750: DBFE0640 1C000002
	ds_read_b128 a[32:35], v2 offset:2048                      // 000000003758: DBFE0800 20000002
	ds_read_b128 a[36:39], v2 offset:2112                      // 000000003760: DBFE0840 24000002
	ds_read_b128 a[40:43], v2 offset:2560                      // 000000003768: DBFE0A00 28000002
	ds_read_b128 a[44:47], v2 offset:2624                      // 000000003770: DBFE0A40 2C000002
	ds_read_b128 a[48:51], v2 offset:3072                      // 000000003778: DBFE0C00 30000002
	ds_read_b128 a[52:55], v2 offset:3136                      // 000000003780: DBFE0C40 34000002
	ds_read_b128 a[56:59], v2 offset:3584                      // 000000003788: DBFE0E00 38000002
	ds_read_b128 a[60:63], v2 offset:3648                      // 000000003790: DBFE0E40 3C000002
	s_cmp_lt_i32 s7, 2                                         // 000000003798: BF048207
	s_cbranch_scc0 label_12FF                                  // 00000000379C: BF840F94

00000000000037a0 <label_0368>:
	s_waitcnt vmcnt(0) lgkmcnt(0)                              // 0000000037A0: BF8C0070
	s_barrier                                                  // 0000000037A4: BF8A0000
	v_mfma_f32_16x16x32_fp8_fp8 v[80:83], a[128:129], a[0:1], v[80:83]// 0000000037A8: D3F30050 1D420180
	v_mfma_f32_16x16x32_fp8_fp8 v[80:83], a[130:131], a[2:3], v[80:83]// 0000000037B0: D3F30050 1D420582
	buffer_load_dwordx4 a[136:139], v76, s[84:87], 0 offen     // 0000000037B8: E05C1000 8095884C
	v_mfma_f32_16x16x32_fp8_fp8 v[80:83], a[132:133], a[4:5], v[80:83]// 0000000037C0: D3F30050 1D420984
	v_mfma_f32_16x16x32_fp8_fp8 v[80:83], a[134:135], a[6:7], v[80:83]// 0000000037C8: D3F30050 1D420D86
	v_mfma_f32_16x16x32_fp8_fp8 v[84:87], a[128:129], a[8:9], v[84:87]// 0000000037D0: D3F30054 1D521180
	v_mfma_f32_16x16x32_fp8_fp8 v[84:87], a[130:131], a[10:11], v[84:87]// 0000000037D8: D3F30054 1D521582
	buffer_load_dwordx4 a[140:143], v76, s[84:87], 0 offen offset:1024// 0000000037E0: E05C1400 80958C4C
	buffer_load_dword v60, s[20:23], 0 offen lds               // 0000000037E8: E0511000 8005003C
	s_add_u32 m0, 0x100, s48                                   // 0000000037F0: 807C30FF 00000100
	v_mfma_f32_16x16x32_fp8_fp8 v[84:87], a[132:133], a[12:13], v[84:87]// 0000000037F8: D3F30054 1D521984
	v_mfma_f32_16x16x32_fp8_fp8 v[84:87], a[134:135], a[14:15], v[84:87]// 000000003800: D3F30054 1D521D86
	buffer_load_dword v61, s[20:23], 0 offen lds               // 000000003808: E0511000 8005003D
	s_add_u32 m0, 0x200, s48                                   // 000000003810: 807C30FF 00000200
	v_mfma_f32_16x16x32_fp8_fp8 v[88:91], a[128:129], a[16:17], v[88:91]// 000000003818: D3F30058 1D622180
	v_mfma_f32_16x16x32_fp8_fp8 v[88:91], a[130:131], a[18:19], v[88:91]// 000000003820: D3F30058 1D622582
	buffer_load_dword v62, s[20:23], 0 offen lds               // 000000003828: E0511000 8005003E
	s_add_u32 m0, 0x300, s48                                   // 000000003830: 807C30FF 00000300
	v_mfma_f32_16x16x32_fp8_fp8 v[88:91], a[132:133], a[20:21], v[88:91]// 000000003838: D3F30058 1D622984
	v_mfma_f32_16x16x32_fp8_fp8 v[88:91], a[134:135], a[22:23], v[88:91]// 000000003840: D3F30058 1D622D86
	buffer_load_dword v63, s[20:23], 0 offen lds               // 000000003848: E0511000 8005003F
	s_add_u32 m0, 0x400, s48                                   // 000000003850: 807C30FF 00000400
	v_mfma_f32_16x16x32_fp8_fp8 v[92:95], a[128:129], a[24:25], v[92:95]// 000000003858: D3F3005C 1D723180
	v_mfma_f32_16x16x32_fp8_fp8 v[92:95], a[130:131], a[26:27], v[92:95]// 000000003860: D3F3005C 1D723582
	buffer_load_dword v64, s[20:23], 0 offen lds               // 000000003868: E0511000 80050040
	s_add_u32 m0, 0x500, s48                                   // 000000003870: 807C30FF 00000500
	v_mfma_f32_16x16x32_fp8_fp8 v[92:95], a[132:133], a[28:29], v[92:95]// 000000003878: D3F3005C 1D723984
	v_mfma_f32_16x16x32_fp8_fp8 v[92:95], a[134:135], a[30:31], v[92:95]// 000000003880: D3F3005C 1D723D86
	buffer_load_dword v65, s[20:23], 0 offen lds               // 000000003888: E0511000 80050041
	s_add_u32 m0, 0x600, s48                                   // 000000003890: 807C30FF 00000600
	v_mfma_f32_16x16x32_fp8_fp8 v[96:99], a[128:129], a[32:33], v[96:99]// 000000003898: D3F30060 1D824180
	v_mfma_f32_16x16x32_fp8_fp8 v[96:99], a[130:131], a[34:35], v[96:99]// 0000000038A0: D3F30060 1D824582
	v_mfma_f32_16x16x32_fp8_fp8 v[96:99], a[132:133], a[36:37], v[96:99]// 0000000038A8: D3F30060 1D824984
	v_mfma_f32_16x16x32_fp8_fp8 v[96:99], a[134:135], a[38:39], v[96:99]// 0000000038B0: D3F30060 1D824D86
	v_mfma_f32_16x16x32_fp8_fp8 v[100:103], a[128:129], a[40:41], v[100:103]// 0000000038B8: D3F30064 1D925180
	v_mfma_f32_16x16x32_fp8_fp8 v[100:103], a[130:131], a[42:43], v[100:103]// 0000000038C0: D3F30064 1D925582
	buffer_load_dword v66, s[20:23], 0 offen lds               // 0000000038C8: E0511000 80050042
	s_add_u32 m0, 0x700, s48                                   // 0000000038D0: 807C30FF 00000700
	v_mfma_f32_16x16x32_fp8_fp8 v[100:103], a[132:133], a[44:45], v[100:103]// 0000000038D8: D3F30064 1D925984
	v_mfma_f32_16x16x32_fp8_fp8 v[100:103], a[134:135], a[46:47], v[100:103]// 0000000038E0: D3F30064 1D925D86
	buffer_load_dword v67, s[20:23], 0 offen lds               // 0000000038E8: E0511000 80050043
	s_add_u32 m0, 0x800, s48                                   // 0000000038F0: 807C30FF 00000800
	v_mfma_f32_16x16x32_fp8_fp8 v[104:107], a[128:129], a[48:49], v[104:107]// 0000000038F8: D3F30068 1DA26180
	v_mfma_f32_16x16x32_fp8_fp8 v[104:107], a[130:131], a[50:51], v[104:107]// 000000003900: D3F30068 1DA26582
	v_mfma_f32_16x16x32_fp8_fp8 v[104:107], a[132:133], a[52:53], v[104:107]// 000000003908: D3F30068 1DA26984
	v_mfma_f32_16x16x32_fp8_fp8 v[104:107], a[134:135], a[54:55], v[104:107]// 000000003910: D3F30068 1DA26D86
	v_mfma_f32_16x16x32_fp8_fp8 v[108:111], a[128:129], a[56:57], v[108:111]// 000000003918: D3F3006C 1DB27180
	v_mfma_f32_16x16x32_fp8_fp8 v[108:111], a[130:131], a[58:59], v[108:111]// 000000003920: D3F3006C 1DB27582
	buffer_load_dword v68, s[20:23], 0 offen lds               // 000000003928: E0511000 80050044
	s_add_u32 m0, 0x900, s48                                   // 000000003930: 807C30FF 00000900
	s_add_u32 s60, 0x80, s80                                   // 000000003938: 803C50FF 00000080
	s_cmp_lt_u32 s60, s81                                      // 000000003940: BF0A513C
	s_cselect_b32 s83, s83, 0                                  // 000000003944: 85538053
	v_mfma_f32_16x16x32_fp8_fp8 v[108:111], a[132:133], a[60:61], v[108:111]// 000000003948: D3F3006C 1DB27984
	v_mfma_f32_16x16x32_fp8_fp8 v[108:111], a[134:135], a[62:63], v[108:111]// 000000003950: D3F3006C 1DB27D86
	buffer_load_dword v69, s[20:23], 0 offen lds               // 000000003958: E0511000 80050045
	s_add_u32 m0, 0xa00, s48                                   // 000000003960: 807C30FF 00000A00
	buffer_load_dword v70, s[20:23], 0 offen lds               // 000000003968: E0511000 80050046
	s_add_u32 m0, 0xb00, s48                                   // 000000003970: 807C30FF 00000B00
	buffer_load_dword v71, s[20:23], 0 offen lds               // 000000003978: E0511000 80050047
	s_add_u32 m0, 0xc00, s48                                   // 000000003980: 807C30FF 00000C00
	buffer_load_dword v72, s[20:23], 0 offen lds               // 000000003988: E0511000 80050048
	s_add_u32 m0, 0xd00, s48                                   // 000000003990: 807C30FF 00000D00
	buffer_load_dword v73, s[20:23], 0 offen lds               // 000000003998: E0511000 80050049
	s_add_u32 m0, 0xe00, s48                                   // 0000000039A0: 807C30FF 00000E00
	buffer_load_dword v74, s[20:23], 0 offen lds               // 0000000039A8: E0511000 8005004A
	s_add_u32 m0, 0xf00, s48                                   // 0000000039B0: 807C30FF 00000F00
	buffer_load_dword v75, s[20:23], 0 offen lds               // 0000000039B8: E0511000 8005004B
	s_add_u32 m0, 0, s49                                       // 0000000039C0: 807C3180
	s_waitcnt vmcnt(16)                                        // 0000000039C4: BF8C4F70
	v_mfma_f32_16x16x32_fp8_fp8 v[112:115], a[136:137], a[0:1], v[112:115]// 0000000039C8: D3F30070 1DC20188
	v_mfma_f32_16x16x32_fp8_fp8 v[112:115], a[138:139], a[2:3], v[112:115]// 0000000039D0: D3F30070 1DC2058A
	buffer_load_dwordx4 a[128:131], v76, s[24:27], 0 offen     // 0000000039D8: E05C1000 8086804C
	v_mfma_f32_16x16x32_fp8_fp8 v[112:115], a[140:141], a[4:5], v[112:115]// 0000000039E0: D3F30070 1DC2098C
	v_mfma_f32_16x16x32_fp8_fp8 v[112:115], a[142:143], a[6:7], v[112:115]// 0000000039E8: D3F30070 1DC20D8E
	ds_read_b128 a[64:67], v2 offset:16512                     // 0000000039F0: DBFE4080 40000002
	ds_read_b128 a[68:71], v2 offset:16576                     // 0000000039F8: DBFE40C0 44000002
	v_mfma_f32_16x16x32_fp8_fp8 v[116:119], a[136:137], a[8:9], v[116:119]// 000000003A00: D3F30074 1DD21188
	v_mfma_f32_16x16x32_fp8_fp8 v[116:119], a[138:139], a[10:11], v[116:119]// 000000003A08: D3F30074 1DD2158A
	buffer_load_dwordx4 a[132:135], v76, s[24:27], 0 offen offset:1024// 000000003A10: E05C1400 8086844C
	v_mfma_f32_16x16x32_fp8_fp8 v[116:119], a[140:141], a[12:13], v[116:119]// 000000003A18: D3F30074 1DD2198C
	v_mfma_f32_16x16x32_fp8_fp8 v[116:119], a[142:143], a[14:15], v[116:119]// 000000003A20: D3F30074 1DD21D8E
	ds_read_b128 a[72:75], v2 offset:17024                     // 000000003A28: DBFE4280 48000002
	ds_read_b128 a[76:79], v2 offset:17088                     // 000000003A30: DBFE42C0 4C000002
	v_mfma_f32_16x16x32_fp8_fp8 v[120:123], a[136:137], a[16:17], v[120:123]// 000000003A38: D3F30078 1DE22188
	v_mfma_f32_16x16x32_fp8_fp8 v[120:123], a[138:139], a[18:19], v[120:123]// 000000003A40: D3F30078 1DE2258A
	v_mfma_f32_16x16x32_fp8_fp8 v[120:123], a[140:141], a[20:21], v[120:123]// 000000003A48: D3F30078 1DE2298C
	v_mfma_f32_16x16x32_fp8_fp8 v[120:123], a[142:143], a[22:23], v[120:123]// 000000003A50: D3F30078 1DE22D8E
	ds_read_b128 a[80:83], v2 offset:17536                     // 000000003A58: DBFE4480 50000002
	ds_read_b128 a[84:87], v2 offset:17600                     // 000000003A60: DBFE44C0 54000002
	v_mfma_f32_16x16x32_fp8_fp8 v[124:127], a[136:137], a[24:25], v[124:127]// 000000003A68: D3F3007C 1DF23188
	v_mfma_f32_16x16x32_fp8_fp8 v[124:127], a[138:139], a[26:27], v[124:127]// 000000003A70: D3F3007C 1DF2358A
	v_mfma_f32_16x16x32_fp8_fp8 v[124:127], a[140:141], a[28:29], v[124:127]// 000000003A78: D3F3007C 1DF2398C
	v_mfma_f32_16x16x32_fp8_fp8 v[124:127], a[142:143], a[30:31], v[124:127]// 000000003A80: D3F3007C 1DF23D8E
	ds_read_b128 a[88:91], v2 offset:18048                     // 000000003A88: DBFE4680 58000002
	ds_read_b128 a[92:95], v2 offset:18112                     // 000000003A90: DBFE46C0 5C000002
	v_mfma_f32_16x16x32_fp8_fp8 v[128:131], a[136:137], a[32:33], v[128:131]// 000000003A98: D3F30080 1E024188
	v_mfma_f32_16x16x32_fp8_fp8 v[128:131], a[138:139], a[34:35], v[128:131]// 000000003AA0: D3F30080 1E02458A
	v_mfma_f32_16x16x32_fp8_fp8 v[128:131], a[140:141], a[36:37], v[128:131]// 000000003AA8: D3F30080 1E02498C
	v_mfma_f32_16x16x32_fp8_fp8 v[128:131], a[142:143], a[38:39], v[128:131]// 000000003AB0: D3F30080 1E024D8E
	ds_read_b128 a[96:99], v2 offset:18560                     // 000000003AB8: DBFE4880 60000002
	ds_read_b128 a[100:103], v2 offset:18624                   // 000000003AC0: DBFE48C0 64000002
	v_mfma_f32_16x16x32_fp8_fp8 v[132:135], a[136:137], a[40:41], v[132:135]// 000000003AC8: D3F30084 1E125188
	v_mfma_f32_16x16x32_fp8_fp8 v[132:135], a[138:139], a[42:43], v[132:135]// 000000003AD0: D3F30084 1E12558A
	v_mfma_f32_16x16x32_fp8_fp8 v[132:135], a[140:141], a[44:45], v[132:135]// 000000003AD8: D3F30084 1E12598C
	v_mfma_f32_16x16x32_fp8_fp8 v[132:135], a[142:143], a[46:47], v[132:135]// 000000003AE0: D3F30084 1E125D8E
	ds_read_b128 a[104:107], v2 offset:19072                   // 000000003AE8: DBFE4A80 68000002
	ds_read_b128 a[108:111], v2 offset:19136                   // 000000003AF0: DBFE4AC0 6C000002
	v_mfma_f32_16x16x32_fp8_fp8 v[136:139], a[136:137], a[48:49], v[136:139]// 000000003AF8: D3F30088 1E226188
	v_mfma_f32_16x16x32_fp8_fp8 v[136:139], a[138:139], a[50:51], v[136:139]// 000000003B00: D3F30088 1E22658A
	v_mfma_f32_16x16x32_fp8_fp8 v[136:139], a[140:141], a[52:53], v[136:139]// 000000003B08: D3F30088 1E22698C
	s_add_u32 s60, 0x180, s80                                  // 000000003B10: 803C50FF 00000180
	s_cmp_lt_u32 s60, s81                                      // 000000003B18: BF0A513C
	s_cselect_b32 s57, s57, 0                                  // 000000003B1C: 85398039
	v_mfma_f32_16x16x32_fp8_fp8 v[136:139], a[142:143], a[54:55], v[136:139]// 000000003B20: D3F30088 1E226D8E
	ds_read_b128 a[112:115], v2 offset:19584                   // 000000003B28: DBFE4C80 70000002
	ds_read_b128 a[116:119], v2 offset:19648                   // 000000003B30: DBFE4CC0 74000002
	s_add_u32 s60, 0x100, s80                                  // 000000003B38: 803C50FF 00000100
	s_cmp_lt_u32 s60, s81                                      // 000000003B40: BF0A513C
	s_cselect_b32 s58, s58, 0                                  // 000000003B44: 853A803A
	v_mfma_f32_16x16x32_fp8_fp8 v[140:143], a[136:137], a[56:57], v[140:143]// 000000003B48: D3F3008C 1E327188
	s_add_u32 s24, s58, s24                                    // 000000003B50: 8018183A
	s_addc_u32 s25, 0, s25                                     // 000000003B54: 82191980
	v_mfma_f32_16x16x32_fp8_fp8 v[140:143], a[138:139], a[58:59], v[140:143]// 000000003B58: D3F3008C 1E32758A
	s_add_u32 s20, s57, s20                                    // 000000003B60: 80141439
	s_addc_u32 s21, 0, s21                                     // 000000003B64: 82151580
	v_mfma_f32_16x16x32_fp8_fp8 v[140:143], a[140:141], a[60:61], v[140:143]// 000000003B68: D3F3008C 1E32798C
	s_add_u32 s84, s83, s84                                    // 000000003B70: 80545453
	s_addc_u32 s85, 0, s85                                     // 000000003B74: 82555580
	v_mfma_f32_16x16x32_fp8_fp8 v[140:143], a[142:143], a[62:63], v[140:143]// 000000003B78: D3F3008C 1E327D8E
	ds_read_b128 a[120:123], v2 offset:20096                   // 000000003B80: DBFE4E80 78000002
	ds_read_b128 a[124:127], v2 offset:20160                   // 000000003B88: DBFE4EC0 7C000002
	s_addk_i32 s80, 0x80                                       // 000000003B90: B7500080
	s_cmp_lt_i32 s80, s81                                      // 000000003B94: BF045150
	s_cbranch_scc0 label_0567                                  // 000000003B98: BF840100
	s_waitcnt vmcnt(0) lgkmcnt(0)                              // 000000003B9C: BF8C0070
	s_barrier                                                  // 000000003BA0: BF8A0000
	v_mfma_f32_16x16x32_fp8_fp8 v[80:83], a[128:129], a[64:65], v[80:83]// 000000003BA4: D3F30050 1D428180
	v_mfma_f32_16x16x32_fp8_fp8 v[80:83], a[130:131], a[66:67], v[80:83]// 000000003BAC: D3F30050 1D428582
	buffer_load_dwordx4 a[136:139], v76, s[84:87], 0 offen     // 000000003BB4: E05C1000 8095884C
	v_mfma_f32_16x16x32_fp8_fp8 v[80:83], a[132:133], a[68:69], v[80:83]// 000000003BBC: D3F30050 1D428984
	v_mfma_f32_16x16x32_fp8_fp8 v[80:83], a[134:135], a[70:71], v[80:83]// 000000003BC4: D3F30050 1D428D86
	v_mfma_f32_16x16x32_fp8_fp8 v[84:87], a[128:129], a[72:73], v[84:87]// 000000003BCC: D3F30054 1D529180
	v_mfma_f32_16x16x32_fp8_fp8 v[84:87], a[130:131], a[74:75], v[84:87]// 000000003BD4: D3F30054 1D529582
	buffer_load_dwordx4 a[140:143], v76, s[84:87], 0 offen offset:1024// 000000003BDC: E05C1400 80958C4C
	buffer_load_dword v60, s[20:23], 0 offen lds               // 000000003BE4: E0511000 8005003C
	s_add_u32 m0, 0x100, s49                                   // 000000003BEC: 807C31FF 00000100
	v_mfma_f32_16x16x32_fp8_fp8 v[84:87], a[132:133], a[76:77], v[84:87]// 000000003BF4: D3F30054 1D529984
	v_mfma_f32_16x16x32_fp8_fp8 v[84:87], a[134:135], a[78:79], v[84:87]// 000000003BFC: D3F30054 1D529D86
	buffer_load_dword v61, s[20:23], 0 offen lds               // 000000003C04: E0511000 8005003D
	s_add_u32 m0, 0x200, s49                                   // 000000003C0C: 807C31FF 00000200
	v_mfma_f32_16x16x32_fp8_fp8 v[88:91], a[128:129], a[80:81], v[88:91]// 000000003C14: D3F30058 1D62A180
	v_mfma_f32_16x16x32_fp8_fp8 v[88:91], a[130:131], a[82:83], v[88:91]// 000000003C1C: D3F30058 1D62A582
	buffer_load_dword v62, s[20:23], 0 offen lds               // 000000003C24: E0511000 8005003E
	s_add_u32 m0, 0x300, s49                                   // 000000003C2C: 807C31FF 00000300
	v_mfma_f32_16x16x32_fp8_fp8 v[88:91], a[132:133], a[84:85], v[88:91]// 000000003C34: D3F30058 1D62A984
	v_mfma_f32_16x16x32_fp8_fp8 v[88:91], a[134:135], a[86:87], v[88:91]// 000000003C3C: D3F30058 1D62AD86
	buffer_load_dword v63, s[20:23], 0 offen lds               // 000000003C44: E0511000 8005003F
	s_add_u32 m0, 0x400, s49                                   // 000000003C4C: 807C31FF 00000400
	v_mfma_f32_16x16x32_fp8_fp8 v[92:95], a[128:129], a[88:89], v[92:95]// 000000003C54: D3F3005C 1D72B180
	v_mfma_f32_16x16x32_fp8_fp8 v[92:95], a[130:131], a[90:91], v[92:95]// 000000003C5C: D3F3005C 1D72B582
	buffer_load_dword v64, s[20:23], 0 offen lds               // 000000003C64: E0511000 80050040
	s_add_u32 m0, 0x500, s49                                   // 000000003C6C: 807C31FF 00000500
	v_mfma_f32_16x16x32_fp8_fp8 v[92:95], a[132:133], a[92:93], v[92:95]// 000000003C74: D3F3005C 1D72B984
	v_mfma_f32_16x16x32_fp8_fp8 v[92:95], a[134:135], a[94:95], v[92:95]// 000000003C7C: D3F3005C 1D72BD86
	buffer_load_dword v65, s[20:23], 0 offen lds               // 000000003C84: E0511000 80050041
	s_add_u32 m0, 0x600, s49                                   // 000000003C8C: 807C31FF 00000600
	v_mfma_f32_16x16x32_fp8_fp8 v[96:99], a[128:129], a[96:97], v[96:99]// 000000003C94: D3F30060 1D82C180
	v_mfma_f32_16x16x32_fp8_fp8 v[96:99], a[130:131], a[98:99], v[96:99]// 000000003C9C: D3F30060 1D82C582
	v_mfma_f32_16x16x32_fp8_fp8 v[96:99], a[132:133], a[100:101], v[96:99]// 000000003CA4: D3F30060 1D82C984
	v_mfma_f32_16x16x32_fp8_fp8 v[96:99], a[134:135], a[102:103], v[96:99]// 000000003CAC: D3F30060 1D82CD86
	v_mfma_f32_16x16x32_fp8_fp8 v[100:103], a[128:129], a[104:105], v[100:103]// 000000003CB4: D3F30064 1D92D180
	v_mfma_f32_16x16x32_fp8_fp8 v[100:103], a[130:131], a[106:107], v[100:103]// 000000003CBC: D3F30064 1D92D582
	buffer_load_dword v66, s[20:23], 0 offen lds               // 000000003CC4: E0511000 80050042
	s_add_u32 m0, 0x700, s49                                   // 000000003CCC: 807C31FF 00000700
	v_mfma_f32_16x16x32_fp8_fp8 v[100:103], a[132:133], a[108:109], v[100:103]// 000000003CD4: D3F30064 1D92D984
	v_mfma_f32_16x16x32_fp8_fp8 v[100:103], a[134:135], a[110:111], v[100:103]// 000000003CDC: D3F30064 1D92DD86
	buffer_load_dword v67, s[20:23], 0 offen lds               // 000000003CE4: E0511000 80050043
	s_add_u32 m0, 0x800, s49                                   // 000000003CEC: 807C31FF 00000800
	v_mfma_f32_16x16x32_fp8_fp8 v[104:107], a[128:129], a[112:113], v[104:107]// 000000003CF4: D3F30068 1DA2E180
	v_mfma_f32_16x16x32_fp8_fp8 v[104:107], a[130:131], a[114:115], v[104:107]// 000000003CFC: D3F30068 1DA2E582
	v_mfma_f32_16x16x32_fp8_fp8 v[104:107], a[132:133], a[116:117], v[104:107]// 000000003D04: D3F30068 1DA2E984
	v_mfma_f32_16x16x32_fp8_fp8 v[104:107], a[134:135], a[118:119], v[104:107]// 000000003D0C: D3F30068 1DA2ED86
	v_mfma_f32_16x16x32_fp8_fp8 v[108:111], a[128:129], a[120:121], v[108:111]// 000000003D14: D3F3006C 1DB2F180
	v_mfma_f32_16x16x32_fp8_fp8 v[108:111], a[130:131], a[122:123], v[108:111]// 000000003D1C: D3F3006C 1DB2F582
	buffer_load_dword v68, s[20:23], 0 offen lds               // 000000003D24: E0511000 80050044
	s_add_u32 m0, 0x900, s49                                   // 000000003D2C: 807C31FF 00000900
	s_add_u32 s60, 0x80, s80                                   // 000000003D34: 803C50FF 00000080
	s_cmp_lt_u32 s60, s81                                      // 000000003D3C: BF0A513C
	s_cselect_b32 s83, s83, 0                                  // 000000003D40: 85538053
	v_mfma_f32_16x16x32_fp8_fp8 v[108:111], a[132:133], a[124:125], v[108:111]// 000000003D44: D3F3006C 1DB2F984
	v_mfma_f32_16x16x32_fp8_fp8 v[108:111], a[134:135], a[126:127], v[108:111]// 000000003D4C: D3F3006C 1DB2FD86
	buffer_load_dword v69, s[20:23], 0 offen lds               // 000000003D54: E0511000 80050045
	s_add_u32 m0, 0xa00, s49                                   // 000000003D5C: 807C31FF 00000A00
	buffer_load_dword v70, s[20:23], 0 offen lds               // 000000003D64: E0511000 80050046
	s_add_u32 m0, 0xb00, s49                                   // 000000003D6C: 807C31FF 00000B00
	buffer_load_dword v71, s[20:23], 0 offen lds               // 000000003D74: E0511000 80050047
	s_add_u32 m0, 0xc00, s49                                   // 000000003D7C: 807C31FF 00000C00
	buffer_load_dword v72, s[20:23], 0 offen lds               // 000000003D84: E0511000 80050048
	s_add_u32 m0, 0xd00, s49                                   // 000000003D8C: 807C31FF 00000D00
	buffer_load_dword v73, s[20:23], 0 offen lds               // 000000003D94: E0511000 80050049
	s_add_u32 m0, 0xe00, s49                                   // 000000003D9C: 807C31FF 00000E00
	buffer_load_dword v74, s[20:23], 0 offen lds               // 000000003DA4: E0511000 8005004A
	s_add_u32 m0, 0xf00, s49                                   // 000000003DAC: 807C31FF 00000F00
	buffer_load_dword v75, s[20:23], 0 offen lds               // 000000003DB4: E0511000 8005004B
	s_add_u32 m0, 0, s48                                       // 000000003DBC: 807C3080
	s_waitcnt vmcnt(16)                                        // 000000003DC0: BF8C4F70
	v_mfma_f32_16x16x32_fp8_fp8 v[112:115], a[136:137], a[64:65], v[112:115]// 000000003DC4: D3F30070 1DC28188
	v_mfma_f32_16x16x32_fp8_fp8 v[112:115], a[138:139], a[66:67], v[112:115]// 000000003DCC: D3F30070 1DC2858A
	buffer_load_dwordx4 a[128:131], v76, s[24:27], 0 offen     // 000000003DD4: E05C1000 8086804C
	v_mfma_f32_16x16x32_fp8_fp8 v[112:115], a[140:141], a[68:69], v[112:115]// 000000003DDC: D3F30070 1DC2898C
	v_mfma_f32_16x16x32_fp8_fp8 v[112:115], a[142:143], a[70:71], v[112:115]// 000000003DE4: D3F30070 1DC28D8E
	ds_read_b128 a[0:3], v2                                    // 000000003DEC: DBFE0000 00000002
	ds_read_b128 a[4:7], v2 offset:64                          // 000000003DF4: DBFE0040 04000002
	v_mfma_f32_16x16x32_fp8_fp8 v[116:119], a[136:137], a[72:73], v[116:119]// 000000003DFC: D3F30074 1DD29188
	v_mfma_f32_16x16x32_fp8_fp8 v[116:119], a[138:139], a[74:75], v[116:119]// 000000003E04: D3F30074 1DD2958A
	buffer_load_dwordx4 a[132:135], v76, s[24:27], 0 offen offset:1024// 000000003E0C: E05C1400 8086844C
	v_mfma_f32_16x16x32_fp8_fp8 v[116:119], a[140:141], a[76:77], v[116:119]// 000000003E14: D3F30074 1DD2998C
	v_mfma_f32_16x16x32_fp8_fp8 v[116:119], a[142:143], a[78:79], v[116:119]// 000000003E1C: D3F30074 1DD29D8E
	ds_read_b128 a[8:11], v2 offset:512                        // 000000003E24: DBFE0200 08000002
	ds_read_b128 a[12:15], v2 offset:576                       // 000000003E2C: DBFE0240 0C000002
	v_mfma_f32_16x16x32_fp8_fp8 v[120:123], a[136:137], a[80:81], v[120:123]// 000000003E34: D3F30078 1DE2A188
	v_mfma_f32_16x16x32_fp8_fp8 v[120:123], a[138:139], a[82:83], v[120:123]// 000000003E3C: D3F30078 1DE2A58A
	v_mfma_f32_16x16x32_fp8_fp8 v[120:123], a[140:141], a[84:85], v[120:123]// 000000003E44: D3F30078 1DE2A98C
	v_mfma_f32_16x16x32_fp8_fp8 v[120:123], a[142:143], a[86:87], v[120:123]// 000000003E4C: D3F30078 1DE2AD8E
	ds_read_b128 a[16:19], v2 offset:1024                      // 000000003E54: DBFE0400 10000002
	ds_read_b128 a[20:23], v2 offset:1088                      // 000000003E5C: DBFE0440 14000002
	v_mfma_f32_16x16x32_fp8_fp8 v[124:127], a[136:137], a[88:89], v[124:127]// 000000003E64: D3F3007C 1DF2B188
	v_mfma_f32_16x16x32_fp8_fp8 v[124:127], a[138:139], a[90:91], v[124:127]// 000000003E6C: D3F3007C 1DF2B58A
	v_mfma_f32_16x16x32_fp8_fp8 v[124:127], a[140:141], a[92:93], v[124:127]// 000000003E74: D3F3007C 1DF2B98C
	v_mfma_f32_16x16x32_fp8_fp8 v[124:127], a[142:143], a[94:95], v[124:127]// 000000003E7C: D3F3007C 1DF2BD8E
	ds_read_b128 a[24:27], v2 offset:1536                      // 000000003E84: DBFE0600 18000002
	ds_read_b128 a[28:31], v2 offset:1600                      // 000000003E8C: DBFE0640 1C000002
	v_mfma_f32_16x16x32_fp8_fp8 v[128:131], a[136:137], a[96:97], v[128:131]// 000000003E94: D3F30080 1E02C188
	v_mfma_f32_16x16x32_fp8_fp8 v[128:131], a[138:139], a[98:99], v[128:131]// 000000003E9C: D3F30080 1E02C58A
	v_mfma_f32_16x16x32_fp8_fp8 v[128:131], a[140:141], a[100:101], v[128:131]// 000000003EA4: D3F30080 1E02C98C
	v_mfma_f32_16x16x32_fp8_fp8 v[128:131], a[142:143], a[102:103], v[128:131]// 000000003EAC: D3F30080 1E02CD8E
	ds_read_b128 a[32:35], v2 offset:2048                      // 000000003EB4: DBFE0800 20000002
	ds_read_b128 a[36:39], v2 offset:2112                      // 000000003EBC: DBFE0840 24000002
	v_mfma_f32_16x16x32_fp8_fp8 v[132:135], a[136:137], a[104:105], v[132:135]// 000000003EC4: D3F30084 1E12D188
	v_mfma_f32_16x16x32_fp8_fp8 v[132:135], a[138:139], a[106:107], v[132:135]// 000000003ECC: D3F30084 1E12D58A
	v_mfma_f32_16x16x32_fp8_fp8 v[132:135], a[140:141], a[108:109], v[132:135]// 000000003ED4: D3F30084 1E12D98C
	v_mfma_f32_16x16x32_fp8_fp8 v[132:135], a[142:143], a[110:111], v[132:135]// 000000003EDC: D3F30084 1E12DD8E
	ds_read_b128 a[40:43], v2 offset:2560                      // 000000003EE4: DBFE0A00 28000002
	ds_read_b128 a[44:47], v2 offset:2624                      // 000000003EEC: DBFE0A40 2C000002
	v_mfma_f32_16x16x32_fp8_fp8 v[136:139], a[136:137], a[112:113], v[136:139]// 000000003EF4: D3F30088 1E22E188
	v_mfma_f32_16x16x32_fp8_fp8 v[136:139], a[138:139], a[114:115], v[136:139]// 000000003EFC: D3F30088 1E22E58A
	v_mfma_f32_16x16x32_fp8_fp8 v[136:139], a[140:141], a[116:117], v[136:139]// 000000003F04: D3F30088 1E22E98C
	s_add_u32 s60, 0x180, s80                                  // 000000003F0C: 803C50FF 00000180
	s_cmp_lt_u32 s60, s81                                      // 000000003F14: BF0A513C
	s_cselect_b32 s57, s57, 0                                  // 000000003F18: 85398039
	v_mfma_f32_16x16x32_fp8_fp8 v[136:139], a[142:143], a[118:119], v[136:139]// 000000003F1C: D3F30088 1E22ED8E
	ds_read_b128 a[48:51], v2 offset:3072                      // 000000003F24: DBFE0C00 30000002
	ds_read_b128 a[52:55], v2 offset:3136                      // 000000003F2C: DBFE0C40 34000002
	s_add_u32 s60, 0x100, s80                                  // 000000003F34: 803C50FF 00000100
	s_cmp_lt_u32 s60, s81                                      // 000000003F3C: BF0A513C
	s_cselect_b32 s58, s58, 0                                  // 000000003F40: 853A803A
	v_mfma_f32_16x16x32_fp8_fp8 v[140:143], a[136:137], a[120:121], v[140:143]// 000000003F44: D3F3008C 1E32F188
	s_add_u32 s24, s58, s24                                    // 000000003F4C: 8018183A
	s_addc_u32 s25, 0, s25                                     // 000000003F50: 82191980
	v_mfma_f32_16x16x32_fp8_fp8 v[140:143], a[138:139], a[122:123], v[140:143]// 000000003F54: D3F3008C 1E32F58A
	s_add_u32 s20, s57, s20                                    // 000000003F5C: 80141439
	s_addc_u32 s21, 0, s21                                     // 000000003F60: 82151580
	v_mfma_f32_16x16x32_fp8_fp8 v[140:143], a[140:141], a[124:125], v[140:143]// 000000003F64: D3F3008C 1E32F98C
	s_add_u32 s84, s83, s84                                    // 000000003F6C: 80545453
	s_addc_u32 s85, 0, s85                                     // 000000003F70: 82555580
	v_mfma_f32_16x16x32_fp8_fp8 v[140:143], a[142:143], a[126:127], v[140:143]// 000000003F74: D3F3008C 1E32FD8E
	ds_read_b128 a[56:59], v2 offset:3584                      // 000000003F7C: DBFE0E00 38000002
	ds_read_b128 a[60:63], v2 offset:3648                      // 000000003F84: DBFE0E40 3C000002
	s_addk_i32 s80, 0x80                                       // 000000003F8C: B7500080
	s_cmp_lt_i32 s80, s81                                      // 000000003F90: BF045150
	s_cbranch_scc0 label_0567                                  // 000000003F94: BF840001
	s_branch label_0368                                        // 000000003F98: BF82FE01

0000000000003f9c <label_0567>:
	v_mul_f32_dpp v80, v24, v80 row_newbcast:0 row_mask:0xf bank_mask:0xf// 000000003F9C: 0AA0A0FA FF015018
	v_mul_f32_dpp v81, v24, v81 row_newbcast:1 row_mask:0xf bank_mask:0xf// 000000003FA4: 0AA2A2FA FF015118
	v_mul_f32_dpp v82, v24, v82 row_newbcast:2 row_mask:0xf bank_mask:0xf// 000000003FAC: 0AA4A4FA FF015218
	v_mul_f32_dpp v83, v24, v83 row_newbcast:3 row_mask:0xf bank_mask:0xf// 000000003FB4: 0AA6A6FA FF015318
	v_mul_f32_dpp v84, v24, v84 row_newbcast:0 row_mask:0xf bank_mask:0xf// 000000003FBC: 0AA8A8FA FF015018
	v_mul_f32_dpp v85, v24, v85 row_newbcast:1 row_mask:0xf bank_mask:0xf// 000000003FC4: 0AAAAAFA FF015118
	v_mul_f32_dpp v86, v24, v86 row_newbcast:2 row_mask:0xf bank_mask:0xf// 000000003FCC: 0AACACFA FF015218
	v_mul_f32_dpp v87, v24, v87 row_newbcast:3 row_mask:0xf bank_mask:0xf// 000000003FD4: 0AAEAEFA FF015318
	v_mul_f32_dpp v88, v24, v88 row_newbcast:0 row_mask:0xf bank_mask:0xf// 000000003FDC: 0AB0B0FA FF015018
	v_mul_f32_dpp v89, v24, v89 row_newbcast:1 row_mask:0xf bank_mask:0xf// 000000003FE4: 0AB2B2FA FF015118
	v_mul_f32_dpp v90, v24, v90 row_newbcast:2 row_mask:0xf bank_mask:0xf// 000000003FEC: 0AB4B4FA FF015218
	v_mul_f32_dpp v91, v24, v91 row_newbcast:3 row_mask:0xf bank_mask:0xf// 000000003FF4: 0AB6B6FA FF015318
	v_mul_f32_dpp v92, v24, v92 row_newbcast:0 row_mask:0xf bank_mask:0xf// 000000003FFC: 0AB8B8FA FF015018
	v_mul_f32_dpp v93, v24, v93 row_newbcast:1 row_mask:0xf bank_mask:0xf// 000000004004: 0ABABAFA FF015118
	v_mul_f32_dpp v94, v24, v94 row_newbcast:2 row_mask:0xf bank_mask:0xf// 00000000400C: 0ABCBCFA FF015218
	v_mul_f32_dpp v95, v24, v95 row_newbcast:3 row_mask:0xf bank_mask:0xf// 000000004014: 0ABEBEFA FF015318
	v_mul_f32_dpp v96, v24, v96 row_newbcast:0 row_mask:0xf bank_mask:0xf// 00000000401C: 0AC0C0FA FF015018
	v_mul_f32_dpp v97, v24, v97 row_newbcast:1 row_mask:0xf bank_mask:0xf// 000000004024: 0AC2C2FA FF015118
	v_mul_f32_dpp v98, v24, v98 row_newbcast:2 row_mask:0xf bank_mask:0xf// 00000000402C: 0AC4C4FA FF015218
	v_mul_f32_dpp v99, v24, v99 row_newbcast:3 row_mask:0xf bank_mask:0xf// 000000004034: 0AC6C6FA FF015318
	v_mul_f32_dpp v100, v24, v100 row_newbcast:0 row_mask:0xf bank_mask:0xf// 00000000403C: 0AC8C8FA FF015018
	v_mul_f32_dpp v101, v24, v101 row_newbcast:1 row_mask:0xf bank_mask:0xf// 000000004044: 0ACACAFA FF015118
	v_mul_f32_dpp v102, v24, v102 row_newbcast:2 row_mask:0xf bank_mask:0xf// 00000000404C: 0ACCCCFA FF015218
	v_mul_f32_dpp v103, v24, v103 row_newbcast:3 row_mask:0xf bank_mask:0xf// 000000004054: 0ACECEFA FF015318
	v_mul_f32_dpp v104, v24, v104 row_newbcast:0 row_mask:0xf bank_mask:0xf// 00000000405C: 0AD0D0FA FF015018
	v_mul_f32_dpp v105, v24, v105 row_newbcast:1 row_mask:0xf bank_mask:0xf// 000000004064: 0AD2D2FA FF015118
	v_mul_f32_dpp v106, v24, v106 row_newbcast:2 row_mask:0xf bank_mask:0xf// 00000000406C: 0AD4D4FA FF015218
	v_mul_f32_dpp v107, v24, v107 row_newbcast:3 row_mask:0xf bank_mask:0xf// 000000004074: 0AD6D6FA FF015318
	v_mul_f32_dpp v108, v24, v108 row_newbcast:0 row_mask:0xf bank_mask:0xf// 00000000407C: 0AD8D8FA FF015018
	v_mul_f32_dpp v109, v24, v109 row_newbcast:1 row_mask:0xf bank_mask:0xf// 000000004084: 0ADADAFA FF015118
	v_mul_f32_dpp v110, v24, v110 row_newbcast:2 row_mask:0xf bank_mask:0xf// 00000000408C: 0ADCDCFA FF015218
	v_mul_f32_dpp v111, v24, v111 row_newbcast:3 row_mask:0xf bank_mask:0xf// 000000004094: 0ADEDEFA FF015318
	v_mul_f32_dpp v112, v26, v112 row_newbcast:0 row_mask:0xf bank_mask:0xf// 00000000409C: 0AE0E0FA FF01501A
	v_mul_f32_dpp v113, v26, v113 row_newbcast:1 row_mask:0xf bank_mask:0xf// 0000000040A4: 0AE2E2FA FF01511A
	v_mul_f32_dpp v114, v26, v114 row_newbcast:2 row_mask:0xf bank_mask:0xf// 0000000040AC: 0AE4E4FA FF01521A
	v_mul_f32_dpp v115, v26, v115 row_newbcast:3 row_mask:0xf bank_mask:0xf// 0000000040B4: 0AE6E6FA FF01531A
	v_mul_f32_dpp v116, v26, v116 row_newbcast:0 row_mask:0xf bank_mask:0xf// 0000000040BC: 0AE8E8FA FF01501A
	v_mul_f32_dpp v117, v26, v117 row_newbcast:1 row_mask:0xf bank_mask:0xf// 0000000040C4: 0AEAEAFA FF01511A
	v_mul_f32_dpp v118, v26, v118 row_newbcast:2 row_mask:0xf bank_mask:0xf// 0000000040CC: 0AECECFA FF01521A
	v_mul_f32_dpp v119, v26, v119 row_newbcast:3 row_mask:0xf bank_mask:0xf// 0000000040D4: 0AEEEEFA FF01531A
	v_mul_f32_dpp v120, v26, v120 row_newbcast:0 row_mask:0xf bank_mask:0xf// 0000000040DC: 0AF0F0FA FF01501A
	v_mul_f32_dpp v121, v26, v121 row_newbcast:1 row_mask:0xf bank_mask:0xf// 0000000040E4: 0AF2F2FA FF01511A
	v_mul_f32_dpp v122, v26, v122 row_newbcast:2 row_mask:0xf bank_mask:0xf// 0000000040EC: 0AF4F4FA FF01521A
	v_mul_f32_dpp v123, v26, v123 row_newbcast:3 row_mask:0xf bank_mask:0xf// 0000000040F4: 0AF6F6FA FF01531A
	v_mul_f32_dpp v124, v26, v124 row_newbcast:0 row_mask:0xf bank_mask:0xf// 0000000040FC: 0AF8F8FA FF01501A
	v_mul_f32_dpp v125, v26, v125 row_newbcast:1 row_mask:0xf bank_mask:0xf// 000000004104: 0AFAFAFA FF01511A
	v_mul_f32_dpp v126, v26, v126 row_newbcast:2 row_mask:0xf bank_mask:0xf// 00000000410C: 0AFCFCFA FF01521A
	v_mul_f32_dpp v127, v26, v127 row_newbcast:3 row_mask:0xf bank_mask:0xf// 000000004114: 0AFEFEFA FF01531A
	v_mul_f32_dpp v128, v26, v128 row_newbcast:0 row_mask:0xf bank_mask:0xf// 00000000411C: 0B0100FA FF01501A
	v_mul_f32_dpp v129, v26, v129 row_newbcast:1 row_mask:0xf bank_mask:0xf// 000000004124: 0B0302FA FF01511A
	v_mul_f32_dpp v130, v26, v130 row_newbcast:2 row_mask:0xf bank_mask:0xf// 00000000412C: 0B0504FA FF01521A
	v_mul_f32_dpp v131, v26, v131 row_newbcast:3 row_mask:0xf bank_mask:0xf// 000000004134: 0B0706FA FF01531A
	v_mul_f32_dpp v132, v26, v132 row_newbcast:0 row_mask:0xf bank_mask:0xf// 00000000413C: 0B0908FA FF01501A
	v_mul_f32_dpp v133, v26, v133 row_newbcast:1 row_mask:0xf bank_mask:0xf// 000000004144: 0B0B0AFA FF01511A
	v_mul_f32_dpp v134, v26, v134 row_newbcast:2 row_mask:0xf bank_mask:0xf// 00000000414C: 0B0D0CFA FF01521A
	v_mul_f32_dpp v135, v26, v135 row_newbcast:3 row_mask:0xf bank_mask:0xf// 000000004154: 0B0F0EFA FF01531A
	v_mul_f32_dpp v136, v26, v136 row_newbcast:0 row_mask:0xf bank_mask:0xf// 00000000415C: 0B1110FA FF01501A
	v_mul_f32_dpp v137, v26, v137 row_newbcast:1 row_mask:0xf bank_mask:0xf// 000000004164: 0B1312FA FF01511A
	v_mul_f32_dpp v138, v26, v138 row_newbcast:2 row_mask:0xf bank_mask:0xf// 00000000416C: 0B1514FA FF01521A
	v_mul_f32_dpp v139, v26, v139 row_newbcast:3 row_mask:0xf bank_mask:0xf// 000000004174: 0B1716FA FF01531A
	v_mul_f32_dpp v140, v26, v140 row_newbcast:0 row_mask:0xf bank_mask:0xf// 00000000417C: 0B1918FA FF01501A
	v_mul_f32_dpp v141, v26, v141 row_newbcast:1 row_mask:0xf bank_mask:0xf// 000000004184: 0B1B1AFA FF01511A
	v_mul_f32_dpp v142, v26, v142 row_newbcast:2 row_mask:0xf bank_mask:0xf// 00000000418C: 0B1D1CFA FF01521A
	v_mul_f32_dpp v143, v26, v143 row_newbcast:3 row_mask:0xf bank_mask:0xf// 000000004194: 0B1F1EFA FF01531A
	v_mul_f32_e32 v36, v36, v144                               // 00000000419C: 0A492124
	v_mov_b32_e32 v4, v36                                      // 0000000041A0: 7E080324
	v_mov_b32_e32 v5, v4                                       // 0000000041A4: 7E0A0304
	v_pk_mul_f32 v[80:81], v[4:5], v[80:81]                    // 0000000041A8: D3B14050 1802A104
	v_pk_mul_f32 v[112:113], v[4:5], v[112:113]                // 0000000041B0: D3B14070 1802E104
	v_pk_mul_f32 v[82:83], v[4:5], v[82:83]                    // 0000000041B8: D3B14052 1802A504
	v_pk_mul_f32 v[114:115], v[4:5], v[114:115]                // 0000000041C0: D3B14072 1802E504
	v_mul_f32_e32 v37, v37, v145                               // 0000000041C8: 0A4B2325
	v_mov_b32_e32 v4, v37                                      // 0000000041CC: 7E080325
	v_mov_b32_e32 v5, v4                                       // 0000000041D0: 7E0A0304
	v_pk_mul_f32 v[84:85], v[4:5], v[84:85]                    // 0000000041D4: D3B14054 1802A904
	v_pk_mul_f32 v[116:117], v[4:5], v[116:117]                // 0000000041DC: D3B14074 1802E904
	v_pk_mul_f32 v[86:87], v[4:5], v[86:87]                    // 0000000041E4: D3B14056 1802AD04
	v_pk_mul_f32 v[118:119], v[4:5], v[118:119]                // 0000000041EC: D3B14076 1802ED04
	v_mul_f32_e32 v38, v38, v146                               // 0000000041F4: 0A4D2526
	v_mov_b32_e32 v4, v38                                      // 0000000041F8: 7E080326
	v_mov_b32_e32 v5, v4                                       // 0000000041FC: 7E0A0304
	v_pk_mul_f32 v[88:89], v[4:5], v[88:89]                    // 000000004200: D3B14058 1802B104
	v_pk_mul_f32 v[120:121], v[4:5], v[120:121]                // 000000004208: D3B14078 1802F104
	v_pk_mul_f32 v[90:91], v[4:5], v[90:91]                    // 000000004210: D3B1405A 1802B504
	v_pk_mul_f32 v[122:123], v[4:5], v[122:123]                // 000000004218: D3B1407A 1802F504
	v_mul_f32_e32 v39, v39, v147                               // 000000004220: 0A4F2727
	v_mov_b32_e32 v4, v39                                      // 000000004224: 7E080327
	v_mov_b32_e32 v5, v4                                       // 000000004228: 7E0A0304
	v_pk_mul_f32 v[92:93], v[4:5], v[92:93]                    // 00000000422C: D3B1405C 1802B904
	v_pk_mul_f32 v[124:125], v[4:5], v[124:125]                // 000000004234: D3B1407C 1802F904
	v_pk_mul_f32 v[94:95], v[4:5], v[94:95]                    // 00000000423C: D3B1405E 1802BD04
	v_pk_mul_f32 v[126:127], v[4:5], v[126:127]                // 000000004244: D3B1407E 1802FD04
	v_mul_f32_e32 v40, v40, v148                               // 00000000424C: 0A512928
	v_mov_b32_e32 v4, v40                                      // 000000004250: 7E080328
	v_mov_b32_e32 v5, v4                                       // 000000004254: 7E0A0304
	v_pk_mul_f32 v[96:97], v[4:5], v[96:97]                    // 000000004258: D3B14060 1802C104
	v_pk_mul_f32 v[128:129], v[4:5], v[128:129]                // 000000004260: D3B14080 18030104
	v_pk_mul_f32 v[98:99], v[4:5], v[98:99]                    // 000000004268: D3B14062 1802C504
	v_pk_mul_f32 v[130:131], v[4:5], v[130:131]                // 000000004270: D3B14082 18030504
	v_mul_f32_e32 v41, v41, v149                               // 000000004278: 0A532B29
	v_mov_b32_e32 v4, v41                                      // 00000000427C: 7E080329
	v_mov_b32_e32 v5, v4                                       // 000000004280: 7E0A0304
	v_pk_mul_f32 v[100:101], v[4:5], v[100:101]                // 000000004284: D3B14064 1802C904
	v_pk_mul_f32 v[132:133], v[4:5], v[132:133]                // 00000000428C: D3B14084 18030904
	v_pk_mul_f32 v[102:103], v[4:5], v[102:103]                // 000000004294: D3B14066 1802CD04
	v_pk_mul_f32 v[134:135], v[4:5], v[134:135]                // 00000000429C: D3B14086 18030D04
	v_mul_f32_e32 v42, v42, v150                               // 0000000042A4: 0A552D2A
	v_mov_b32_e32 v4, v42                                      // 0000000042A8: 7E08032A
	v_mov_b32_e32 v5, v4                                       // 0000000042AC: 7E0A0304
	v_pk_mul_f32 v[104:105], v[4:5], v[104:105]                // 0000000042B0: D3B14068 1802D104
	v_pk_mul_f32 v[136:137], v[4:5], v[136:137]                // 0000000042B8: D3B14088 18031104
	v_pk_mul_f32 v[106:107], v[4:5], v[106:107]                // 0000000042C0: D3B1406A 1802D504
	v_pk_mul_f32 v[138:139], v[4:5], v[138:139]                // 0000000042C8: D3B1408A 18031504
	v_mul_f32_e32 v43, v43, v151                               // 0000000042D0: 0A572F2B
	v_mov_b32_e32 v4, v43                                      // 0000000042D4: 7E08032B
	v_mov_b32_e32 v5, v4                                       // 0000000042D8: 7E0A0304
	v_pk_mul_f32 v[108:109], v[4:5], v[108:109]                // 0000000042DC: D3B1406C 1802D904
	v_pk_mul_f32 v[140:141], v[4:5], v[140:141]                // 0000000042E4: D3B1408C 18031904
	v_pk_mul_f32 v[110:111], v[4:5], v[110:111]                // 0000000042EC: D3B1406E 1802DD04
	v_pk_mul_f32 v[142:143], v[4:5], v[142:143]                // 0000000042F4: D3B1408E 18031D04
	s_cmp_eq_u32 s88, 0                                        // 0000000042FC: BF068058
	s_cbranch_scc0 label_0C32                                  // 000000004300: BF8405F1
	s_cmp_eq_u32 s89, 0                                        // 000000004304: BF068059
	s_cbranch_scc1 label_0788                                  // 000000004308: BF850145
	v_mov_b32_e32 v8, v1                                       // 00000000430C: 7E100301
	v_mov_b32_e32 v9, v1                                       // 000000004310: 7E120301
	s_mov_b32 s60, s6                                          // 000000004314: BEBC0006
	s_mov_b32 s61, s6                                          // 000000004318: BEBD0006
	v_pk_mul_f32 v[4:5], v[80:81], v[80:81]                    // 00000000431C: D3B14004 1802A150
	v_pk_mul_f32 v[6:7], v[82:83], v[82:83]                    // 000000004324: D3B14006 1802A552
	v_pk_fma_f32 v[4:5], v[4:5], s[78:79], v[8:9]              // 00000000432C: D3B04004 1C209D04
	v_pk_fma_f32 v[6:7], v[6:7], s[78:79], v[8:9]              // 000000004334: D3B04006 1C209D06
	v_pk_mul_f32 v[4:5], v[4:5], v[80:81]                      // 00000000433C: D3B14004 1802A104
	v_pk_mul_f32 v[6:7], v[6:7], v[82:83]                      // 000000004344: D3B14006 1802A506
	v_pk_mul_f32 v[4:5], v[4:5], s[60:61]                      // 00000000434C: D3B14004 18007904
	v_pk_mul_f32 v[6:7], v[6:7], s[60:61]                      // 000000004354: D3B14006 18007906
	v_exp_f32_e32 v4, v4                                       // 00000000435C: 7E084104
	v_exp_f32_e32 v5, v5                                       // 000000004360: 7E0A4105
	v_exp_f32_e32 v6, v6                                       // 000000004364: 7E0C4106
	v_exp_f32_e32 v7, v7                                       // 000000004368: 7E0E4107
	v_add_f32_e64 v4, v4, 1.0                                  // 00000000436C: D1010004 0001E504
	v_add_f32_e64 v5, v5, 1.0                                  // 000000004374: D1010005 0001E505
	v_add_f32_e64 v6, v6, 1.0                                  // 00000000437C: D1010006 0001E506
	v_add_f32_e64 v7, v7, 1.0                                  // 000000004384: D1010007 0001E507
	v_rcp_f32_e32 v4, v4                                       // 00000000438C: 7E084504
	v_rcp_f32_e32 v5, v5                                       // 000000004390: 7E0A4505
	v_rcp_f32_e32 v6, v6                                       // 000000004394: 7E0C4506
	v_rcp_f32_e32 v7, v7                                       // 000000004398: 7E0E4507
	v_mul_f32_e32 v80, v80, v4                                 // 00000000439C: 0AA00950
	v_mul_f32_e32 v81, v81, v5                                 // 0000000043A0: 0AA20B51
	v_mul_f32_e32 v82, v82, v6                                 // 0000000043A4: 0AA40D52
	v_mul_f32_e32 v83, v83, v7                                 // 0000000043A8: 0AA60F53
	v_mul_f32_e32 v80, v80, v112                               // 0000000043AC: 0AA0E150
	v_mul_f32_e32 v81, v81, v113                               // 0000000043B0: 0AA2E351
	v_mul_f32_e32 v82, v82, v114                               // 0000000043B4: 0AA4E552
	v_mul_f32_e32 v83, v83, v115                               // 0000000043B8: 0AA6E753
	v_pk_mul_f32 v[4:5], v[84:85], v[84:85]                    // 0000000043BC: D3B14004 1802A954
	v_pk_mul_f32 v[6:7], v[86:87], v[86:87]                    // 0000000043C4: D3B14006 1802AD56
	v_pk_fma_f32 v[4:5], v[4:5], s[78:79], v[8:9]              // 0000000043CC: D3B04004 1C209D04
	v_pk_fma_f32 v[6:7], v[6:7], s[78:79], v[8:9]              // 0000000043D4: D3B04006 1C209D06
	v_pk_mul_f32 v[4:5], v[4:5], v[84:85]                      // 0000000043DC: D3B14004 1802A904
	v_pk_mul_f32 v[6:7], v[6:7], v[86:87]                      // 0000000043E4: D3B14006 1802AD06
	v_pk_mul_f32 v[4:5], v[4:5], s[60:61]                      // 0000000043EC: D3B14004 18007904
	v_pk_mul_f32 v[6:7], v[6:7], s[60:61]                      // 0000000043F4: D3B14006 18007906
	v_exp_f32_e32 v4, v4                                       // 0000000043FC: 7E084104
	v_exp_f32_e32 v5, v5                                       // 000000004400: 7E0A4105
	v_exp_f32_e32 v6, v6                                       // 000000004404: 7E0C4106
	v_exp_f32_e32 v7, v7                                       // 000000004408: 7E0E4107
	v_add_f32_e64 v4, v4, 1.0                                  // 00000000440C: D1010004 0001E504
	v_add_f32_e64 v5, v5, 1.0                                  // 000000004414: D1010005 0001E505
	v_add_f32_e64 v6, v6, 1.0                                  // 00000000441C: D1010006 0001E506
	v_add_f32_e64 v7, v7, 1.0                                  // 000000004424: D1010007 0001E507
	v_rcp_f32_e32 v4, v4                                       // 00000000442C: 7E084504
	v_rcp_f32_e32 v5, v5                                       // 000000004430: 7E0A4505
	v_rcp_f32_e32 v6, v6                                       // 000000004434: 7E0C4506
	v_rcp_f32_e32 v7, v7                                       // 000000004438: 7E0E4507
	v_mul_f32_e32 v84, v84, v4                                 // 00000000443C: 0AA80954
	v_mul_f32_e32 v85, v85, v5                                 // 000000004440: 0AAA0B55
	v_mul_f32_e32 v86, v86, v6                                 // 000000004444: 0AAC0D56
	v_mul_f32_e32 v87, v87, v7                                 // 000000004448: 0AAE0F57
	v_mul_f32_e32 v84, v84, v116                               // 00000000444C: 0AA8E954
	v_mul_f32_e32 v85, v85, v117                               // 000000004450: 0AAAEB55
	v_mul_f32_e32 v86, v86, v118                               // 000000004454: 0AACED56
	v_mul_f32_e32 v87, v87, v119                               // 000000004458: 0AAEEF57
	v_pk_mul_f32 v[4:5], v[88:89], v[88:89]                    // 00000000445C: D3B14004 1802B158
	v_pk_mul_f32 v[6:7], v[90:91], v[90:91]                    // 000000004464: D3B14006 1802B55A
	v_pk_fma_f32 v[4:5], v[4:5], s[78:79], v[8:9]              // 00000000446C: D3B04004 1C209D04
	v_pk_fma_f32 v[6:7], v[6:7], s[78:79], v[8:9]              // 000000004474: D3B04006 1C209D06
	v_pk_mul_f32 v[4:5], v[4:5], v[88:89]                      // 00000000447C: D3B14004 1802B104
	v_pk_mul_f32 v[6:7], v[6:7], v[90:91]                      // 000000004484: D3B14006 1802B506
	v_pk_mul_f32 v[4:5], v[4:5], s[60:61]                      // 00000000448C: D3B14004 18007904
	v_pk_mul_f32 v[6:7], v[6:7], s[60:61]                      // 000000004494: D3B14006 18007906
	v_exp_f32_e32 v4, v4                                       // 00000000449C: 7E084104
	v_exp_f32_e32 v5, v5                                       // 0000000044A0: 7E0A4105
	v_exp_f32_e32 v6, v6                                       // 0000000044A4: 7E0C4106
	v_exp_f32_e32 v7, v7                                       // 0000000044A8: 7E0E4107
	v_add_f32_e64 v4, v4, 1.0                                  // 0000000044AC: D1010004 0001E504
	v_add_f32_e64 v5, v5, 1.0                                  // 0000000044B4: D1010005 0001E505
	v_add_f32_e64 v6, v6, 1.0                                  // 0000000044BC: D1010006 0001E506
	v_add_f32_e64 v7, v7, 1.0                                  // 0000000044C4: D1010007 0001E507
	v_rcp_f32_e32 v4, v4                                       // 0000000044CC: 7E084504
	v_rcp_f32_e32 v5, v5                                       // 0000000044D0: 7E0A4505
	v_rcp_f32_e32 v6, v6                                       // 0000000044D4: 7E0C4506
	v_rcp_f32_e32 v7, v7                                       // 0000000044D8: 7E0E4507
	v_mul_f32_e32 v88, v88, v4                                 // 0000000044DC: 0AB00958
	v_mul_f32_e32 v89, v89, v5                                 // 0000000044E0: 0AB20B59
	v_mul_f32_e32 v90, v90, v6                                 // 0000000044E4: 0AB40D5A
	v_mul_f32_e32 v91, v91, v7                                 // 0000000044E8: 0AB60F5B
	v_mul_f32_e32 v88, v88, v120                               // 0000000044EC: 0AB0F158
	v_mul_f32_e32 v89, v89, v121                               // 0000000044F0: 0AB2F359
	v_mul_f32_e32 v90, v90, v122                               // 0000000044F4: 0AB4F55A
	v_mul_f32_e32 v91, v91, v123                               // 0000000044F8: 0AB6F75B
	v_pk_mul_f32 v[4:5], v[92:93], v[92:93]                    // 0000000044FC: D3B14004 1802B95C
	v_pk_mul_f32 v[6:7], v[94:95], v[94:95]                    // 000000004504: D3B14006 1802BD5E
	v_pk_fma_f32 v[4:5], v[4:5], s[78:79], v[8:9]              // 00000000450C: D3B04004 1C209D04
	v_pk_fma_f32 v[6:7], v[6:7], s[78:79], v[8:9]              // 000000004514: D3B04006 1C209D06
	v_pk_mul_f32 v[4:5], v[4:5], v[92:93]                      // 00000000451C: D3B14004 1802B904
	v_pk_mul_f32 v[6:7], v[6:7], v[94:95]                      // 000000004524: D3B14006 1802BD06
	v_pk_mul_f32 v[4:5], v[4:5], s[60:61]                      // 00000000452C: D3B14004 18007904
	v_pk_mul_f32 v[6:7], v[6:7], s[60:61]                      // 000000004534: D3B14006 18007906
	v_exp_f32_e32 v4, v4                                       // 00000000453C: 7E084104
	v_exp_f32_e32 v5, v5                                       // 000000004540: 7E0A4105
	v_exp_f32_e32 v6, v6                                       // 000000004544: 7E0C4106
	v_exp_f32_e32 v7, v7                                       // 000000004548: 7E0E4107
	v_add_f32_e64 v4, v4, 1.0                                  // 00000000454C: D1010004 0001E504
	v_add_f32_e64 v5, v5, 1.0                                  // 000000004554: D1010005 0001E505
	v_add_f32_e64 v6, v6, 1.0                                  // 00000000455C: D1010006 0001E506
	v_add_f32_e64 v7, v7, 1.0                                  // 000000004564: D1010007 0001E507
	v_rcp_f32_e32 v4, v4                                       // 00000000456C: 7E084504
	v_rcp_f32_e32 v5, v5                                       // 000000004570: 7E0A4505
	v_rcp_f32_e32 v6, v6                                       // 000000004574: 7E0C4506
	v_rcp_f32_e32 v7, v7                                       // 000000004578: 7E0E4507
	v_mul_f32_e32 v92, v92, v4                                 // 00000000457C: 0AB8095C
	v_mul_f32_e32 v93, v93, v5                                 // 000000004580: 0ABA0B5D
	v_mul_f32_e32 v94, v94, v6                                 // 000000004584: 0ABC0D5E
	v_mul_f32_e32 v95, v95, v7                                 // 000000004588: 0ABE0F5F
	v_mul_f32_e32 v92, v92, v124                               // 00000000458C: 0AB8F95C
	v_mul_f32_e32 v93, v93, v125                               // 000000004590: 0ABAFB5D
	v_mul_f32_e32 v94, v94, v126                               // 000000004594: 0ABCFD5E
	v_mul_f32_e32 v95, v95, v127                               // 000000004598: 0ABEFF5F
	v_pk_mul_f32 v[4:5], v[96:97], v[96:97]                    // 00000000459C: D3B14004 1802C160
	v_pk_mul_f32 v[6:7], v[98:99], v[98:99]                    // 0000000045A4: D3B14006 1802C562
	v_pk_fma_f32 v[4:5], v[4:5], s[78:79], v[8:9]              // 0000000045AC: D3B04004 1C209D04
	v_pk_fma_f32 v[6:7], v[6:7], s[78:79], v[8:9]              // 0000000045B4: D3B04006 1C209D06
	v_pk_mul_f32 v[4:5], v[4:5], v[96:97]                      // 0000000045BC: D3B14004 1802C104
	v_pk_mul_f32 v[6:7], v[6:7], v[98:99]                      // 0000000045C4: D3B14006 1802C506
	v_pk_mul_f32 v[4:5], v[4:5], s[60:61]                      // 0000000045CC: D3B14004 18007904
	v_pk_mul_f32 v[6:7], v[6:7], s[60:61]                      // 0000000045D4: D3B14006 18007906
	v_exp_f32_e32 v4, v4                                       // 0000000045DC: 7E084104
	v_exp_f32_e32 v5, v5                                       // 0000000045E0: 7E0A4105
	v_exp_f32_e32 v6, v6                                       // 0000000045E4: 7E0C4106
	v_exp_f32_e32 v7, v7                                       // 0000000045E8: 7E0E4107
	v_add_f32_e64 v4, v4, 1.0                                  // 0000000045EC: D1010004 0001E504
	v_add_f32_e64 v5, v5, 1.0                                  // 0000000045F4: D1010005 0001E505
	v_add_f32_e64 v6, v6, 1.0                                  // 0000000045FC: D1010006 0001E506
	v_add_f32_e64 v7, v7, 1.0                                  // 000000004604: D1010007 0001E507
	v_rcp_f32_e32 v4, v4                                       // 00000000460C: 7E084504
	v_rcp_f32_e32 v5, v5                                       // 000000004610: 7E0A4505
	v_rcp_f32_e32 v6, v6                                       // 000000004614: 7E0C4506
	v_rcp_f32_e32 v7, v7                                       // 000000004618: 7E0E4507
	v_mul_f32_e32 v96, v96, v4                                 // 00000000461C: 0AC00960
	v_mul_f32_e32 v97, v97, v5                                 // 000000004620: 0AC20B61
	v_mul_f32_e32 v98, v98, v6                                 // 000000004624: 0AC40D62
	v_mul_f32_e32 v99, v99, v7                                 // 000000004628: 0AC60F63
	v_mul_f32_e32 v96, v96, v128                               // 00000000462C: 0AC10160
	v_mul_f32_e32 v97, v97, v129                               // 000000004630: 0AC30361
	v_mul_f32_e32 v98, v98, v130                               // 000000004634: 0AC50562
	v_mul_f32_e32 v99, v99, v131                               // 000000004638: 0AC70763
	v_pk_mul_f32 v[4:5], v[100:101], v[100:101]                // 00000000463C: D3B14004 1802C964
	v_pk_mul_f32 v[6:7], v[102:103], v[102:103]                // 000000004644: D3B14006 1802CD66
	v_pk_fma_f32 v[4:5], v[4:5], s[78:79], v[8:9]              // 00000000464C: D3B04004 1C209D04
	v_pk_fma_f32 v[6:7], v[6:7], s[78:79], v[8:9]              // 000000004654: D3B04006 1C209D06
	v_pk_mul_f32 v[4:5], v[4:5], v[100:101]                    // 00000000465C: D3B14004 1802C904
	v_pk_mul_f32 v[6:7], v[6:7], v[102:103]                    // 000000004664: D3B14006 1802CD06
	v_pk_mul_f32 v[4:5], v[4:5], s[60:61]                      // 00000000466C: D3B14004 18007904
	v_pk_mul_f32 v[6:7], v[6:7], s[60:61]                      // 000000004674: D3B14006 18007906
	v_exp_f32_e32 v4, v4                                       // 00000000467C: 7E084104
	v_exp_f32_e32 v5, v5                                       // 000000004680: 7E0A4105
	v_exp_f32_e32 v6, v6                                       // 000000004684: 7E0C4106
	v_exp_f32_e32 v7, v7                                       // 000000004688: 7E0E4107
	v_add_f32_e64 v4, v4, 1.0                                  // 00000000468C: D1010004 0001E504
	v_add_f32_e64 v5, v5, 1.0                                  // 000000004694: D1010005 0001E505
	v_add_f32_e64 v6, v6, 1.0                                  // 00000000469C: D1010006 0001E506
	v_add_f32_e64 v7, v7, 1.0                                  // 0000000046A4: D1010007 0001E507
	v_rcp_f32_e32 v4, v4                                       // 0000000046AC: 7E084504
	v_rcp_f32_e32 v5, v5                                       // 0000000046B0: 7E0A4505
	v_rcp_f32_e32 v6, v6                                       // 0000000046B4: 7E0C4506
	v_rcp_f32_e32 v7, v7                                       // 0000000046B8: 7E0E4507
	v_mul_f32_e32 v100, v100, v4                               // 0000000046BC: 0AC80964
	v_mul_f32_e32 v101, v101, v5                               // 0000000046C0: 0ACA0B65
	v_mul_f32_e32 v102, v102, v6                               // 0000000046C4: 0ACC0D66
	v_mul_f32_e32 v103, v103, v7                               // 0000000046C8: 0ACE0F67
	v_mul_f32_e32 v100, v100, v132                             // 0000000046CC: 0AC90964
	v_mul_f32_e32 v101, v101, v133                             // 0000000046D0: 0ACB0B65
	v_mul_f32_e32 v102, v102, v134                             // 0000000046D4: 0ACD0D66
	v_mul_f32_e32 v103, v103, v135                             // 0000000046D8: 0ACF0F67
	v_pk_mul_f32 v[4:5], v[104:105], v[104:105]                // 0000000046DC: D3B14004 1802D168
	v_pk_mul_f32 v[6:7], v[106:107], v[106:107]                // 0000000046E4: D3B14006 1802D56A
	v_pk_fma_f32 v[4:5], v[4:5], s[78:79], v[8:9]              // 0000000046EC: D3B04004 1C209D04
	v_pk_fma_f32 v[6:7], v[6:7], s[78:79], v[8:9]              // 0000000046F4: D3B04006 1C209D06
	v_pk_mul_f32 v[4:5], v[4:5], v[104:105]                    // 0000000046FC: D3B14004 1802D104
	v_pk_mul_f32 v[6:7], v[6:7], v[106:107]                    // 000000004704: D3B14006 1802D506
	v_pk_mul_f32 v[4:5], v[4:5], s[60:61]                      // 00000000470C: D3B14004 18007904
	v_pk_mul_f32 v[6:7], v[6:7], s[60:61]                      // 000000004714: D3B14006 18007906
	v_exp_f32_e32 v4, v4                                       // 00000000471C: 7E084104
	v_exp_f32_e32 v5, v5                                       // 000000004720: 7E0A4105
	v_exp_f32_e32 v6, v6                                       // 000000004724: 7E0C4106
	v_exp_f32_e32 v7, v7                                       // 000000004728: 7E0E4107
	v_add_f32_e64 v4, v4, 1.0                                  // 00000000472C: D1010004 0001E504
	v_add_f32_e64 v5, v5, 1.0                                  // 000000004734: D1010005 0001E505
	v_add_f32_e64 v6, v6, 1.0                                  // 00000000473C: D1010006 0001E506
	v_add_f32_e64 v7, v7, 1.0                                  // 000000004744: D1010007 0001E507
	v_rcp_f32_e32 v4, v4                                       // 00000000474C: 7E084504
	v_rcp_f32_e32 v5, v5                                       // 000000004750: 7E0A4505
	v_rcp_f32_e32 v6, v6                                       // 000000004754: 7E0C4506
	v_rcp_f32_e32 v7, v7                                       // 000000004758: 7E0E4507
	v_mul_f32_e32 v104, v104, v4                               // 00000000475C: 0AD00968
	v_mul_f32_e32 v105, v105, v5                               // 000000004760: 0AD20B69
	v_mul_f32_e32 v106, v106, v6                               // 000000004764: 0AD40D6A
	v_mul_f32_e32 v107, v107, v7                               // 000000004768: 0AD60F6B
	v_mul_f32_e32 v104, v104, v136                             // 00000000476C: 0AD11168
	v_mul_f32_e32 v105, v105, v137                             // 000000004770: 0AD31369
	v_mul_f32_e32 v106, v106, v138                             // 000000004774: 0AD5156A
	v_mul_f32_e32 v107, v107, v139                             // 000000004778: 0AD7176B
	v_pk_mul_f32 v[4:5], v[108:109], v[108:109]                // 00000000477C: D3B14004 1802D96C
	v_pk_mul_f32 v[6:7], v[110:111], v[110:111]                // 000000004784: D3B14006 1802DD6E
	v_pk_fma_f32 v[4:5], v[4:5], s[78:79], v[8:9]              // 00000000478C: D3B04004 1C209D04
	v_pk_fma_f32 v[6:7], v[6:7], s[78:79], v[8:9]              // 000000004794: D3B04006 1C209D06
	v_pk_mul_f32 v[4:5], v[4:5], v[108:109]                    // 00000000479C: D3B14004 1802D904
	v_pk_mul_f32 v[6:7], v[6:7], v[110:111]                    // 0000000047A4: D3B14006 1802DD06
	v_pk_mul_f32 v[4:5], v[4:5], s[60:61]                      // 0000000047AC: D3B14004 18007904
	v_pk_mul_f32 v[6:7], v[6:7], s[60:61]                      // 0000000047B4: D3B14006 18007906
	v_exp_f32_e32 v4, v4                                       // 0000000047BC: 7E084104
	v_exp_f32_e32 v5, v5                                       // 0000000047C0: 7E0A4105
	v_exp_f32_e32 v6, v6                                       // 0000000047C4: 7E0C4106
	v_exp_f32_e32 v7, v7                                       // 0000000047C8: 7E0E4107
	v_add_f32_e64 v4, v4, 1.0                                  // 0000000047CC: D1010004 0001E504
	v_add_f32_e64 v5, v5, 1.0                                  // 0000000047D4: D1010005 0001E505
	v_add_f32_e64 v6, v6, 1.0                                  // 0000000047DC: D1010006 0001E506
	v_add_f32_e64 v7, v7, 1.0                                  // 0000000047E4: D1010007 0001E507
	v_rcp_f32_e32 v4, v4                                       // 0000000047EC: 7E084504
	v_rcp_f32_e32 v5, v5                                       // 0000000047F0: 7E0A4505
	v_rcp_f32_e32 v6, v6                                       // 0000000047F4: 7E0C4506
	v_rcp_f32_e32 v7, v7                                       // 0000000047F8: 7E0E4507
	v_mul_f32_e32 v108, v108, v4                               // 0000000047FC: 0AD8096C
	v_mul_f32_e32 v109, v109, v5                               // 000000004800: 0ADA0B6D
	v_mul_f32_e32 v110, v110, v6                               // 000000004804: 0ADC0D6E
	v_mul_f32_e32 v111, v111, v7                               // 000000004808: 0ADE0F6F
	v_mul_f32_e32 v108, v108, v140                             // 00000000480C: 0AD9196C
	v_mul_f32_e32 v109, v109, v141                             // 000000004810: 0ADB1B6D
	v_mul_f32_e32 v110, v110, v142                             // 000000004814: 0ADD1D6E
	v_mul_f32_e32 v111, v111, v143                             // 000000004818: 0ADF1F6F
	s_branch label_0888                                        // 00000000481C: BF820100

0000000000004820 <label_0788>:
	v_mul_f32_e64 v4, -v80, s6                                 // 000000004820: D1050004 20000D50
	v_mul_f32_e64 v5, -v81, s6                                 // 000000004828: D1050005 20000D51
	v_mul_f32_e64 v6, -v82, s6                                 // 000000004830: D1050006 20000D52
	v_mul_f32_e64 v7, -v83, s6                                 // 000000004838: D1050007 20000D53
	v_exp_f32_e32 v4, v4                                       // 000000004840: 7E084104
	v_exp_f32_e32 v5, v5                                       // 000000004844: 7E0A4105
	v_exp_f32_e32 v6, v6                                       // 000000004848: 7E0C4106
	v_exp_f32_e32 v7, v7                                       // 00000000484C: 7E0E4107
	v_add_f32_e64 v4, v4, 1.0                                  // 000000004850: D1010004 0001E504
	v_add_f32_e64 v5, v5, 1.0                                  // 000000004858: D1010005 0001E505
	v_add_f32_e64 v6, v6, 1.0                                  // 000000004860: D1010006 0001E506
	v_add_f32_e64 v7, v7, 1.0                                  // 000000004868: D1010007 0001E507
	v_rcp_f32_e32 v4, v4                                       // 000000004870: 7E084504
	v_rcp_f32_e32 v5, v5                                       // 000000004874: 7E0A4505
	v_rcp_f32_e32 v6, v6                                       // 000000004878: 7E0C4506
	v_rcp_f32_e32 v7, v7                                       // 00000000487C: 7E0E4507
	v_mul_f32_e32 v80, v80, v4                                 // 000000004880: 0AA00950
	v_mul_f32_e32 v81, v81, v5                                 // 000000004884: 0AA20B51
	v_mul_f32_e32 v82, v82, v6                                 // 000000004888: 0AA40D52
	v_mul_f32_e32 v83, v83, v7                                 // 00000000488C: 0AA60F53
	v_mul_f32_e32 v80, v80, v112                               // 000000004890: 0AA0E150
	v_mul_f32_e32 v81, v81, v113                               // 000000004894: 0AA2E351
	v_mul_f32_e32 v82, v82, v114                               // 000000004898: 0AA4E552
	v_mul_f32_e32 v83, v83, v115                               // 00000000489C: 0AA6E753
	v_mul_f32_e64 v4, -v84, s6                                 // 0000000048A0: D1050004 20000D54
	v_mul_f32_e64 v5, -v85, s6                                 // 0000000048A8: D1050005 20000D55
	v_mul_f32_e64 v6, -v86, s6                                 // 0000000048B0: D1050006 20000D56
	v_mul_f32_e64 v7, -v87, s6                                 // 0000000048B8: D1050007 20000D57
	v_exp_f32_e32 v4, v4                                       // 0000000048C0: 7E084104
	v_exp_f32_e32 v5, v5                                       // 0000000048C4: 7E0A4105
	v_exp_f32_e32 v6, v6                                       // 0000000048C8: 7E0C4106
	v_exp_f32_e32 v7, v7                                       // 0000000048CC: 7E0E4107
	v_add_f32_e64 v4, v4, 1.0                                  // 0000000048D0: D1010004 0001E504
	v_add_f32_e64 v5, v5, 1.0                                  // 0000000048D8: D1010005 0001E505
	v_add_f32_e64 v6, v6, 1.0                                  // 0000000048E0: D1010006 0001E506
	v_add_f32_e64 v7, v7, 1.0                                  // 0000000048E8: D1010007 0001E507
	v_rcp_f32_e32 v4, v4                                       // 0000000048F0: 7E084504
	v_rcp_f32_e32 v5, v5                                       // 0000000048F4: 7E0A4505
	v_rcp_f32_e32 v6, v6                                       // 0000000048F8: 7E0C4506
	v_rcp_f32_e32 v7, v7                                       // 0000000048FC: 7E0E4507
	v_mul_f32_e32 v84, v84, v4                                 // 000000004900: 0AA80954
	v_mul_f32_e32 v85, v85, v5                                 // 000000004904: 0AAA0B55
	v_mul_f32_e32 v86, v86, v6                                 // 000000004908: 0AAC0D56
	v_mul_f32_e32 v87, v87, v7                                 // 00000000490C: 0AAE0F57
	v_mul_f32_e32 v84, v84, v116                               // 000000004910: 0AA8E954
	v_mul_f32_e32 v85, v85, v117                               // 000000004914: 0AAAEB55
	v_mul_f32_e32 v86, v86, v118                               // 000000004918: 0AACED56
	v_mul_f32_e32 v87, v87, v119                               // 00000000491C: 0AAEEF57
	v_mul_f32_e64 v4, -v88, s6                                 // 000000004920: D1050004 20000D58
	v_mul_f32_e64 v5, -v89, s6                                 // 000000004928: D1050005 20000D59
	v_mul_f32_e64 v6, -v90, s6                                 // 000000004930: D1050006 20000D5A
	v_mul_f32_e64 v7, -v91, s6                                 // 000000004938: D1050007 20000D5B
	v_exp_f32_e32 v4, v4                                       // 000000004940: 7E084104
	v_exp_f32_e32 v5, v5                                       // 000000004944: 7E0A4105
	v_exp_f32_e32 v6, v6                                       // 000000004948: 7E0C4106
	v_exp_f32_e32 v7, v7                                       // 00000000494C: 7E0E4107
	v_add_f32_e64 v4, v4, 1.0                                  // 000000004950: D1010004 0001E504
	v_add_f32_e64 v5, v5, 1.0                                  // 000000004958: D1010005 0001E505
	v_add_f32_e64 v6, v6, 1.0                                  // 000000004960: D1010006 0001E506
	v_add_f32_e64 v7, v7, 1.0                                  // 000000004968: D1010007 0001E507
	v_rcp_f32_e32 v4, v4                                       // 000000004970: 7E084504
	v_rcp_f32_e32 v5, v5                                       // 000000004974: 7E0A4505
	v_rcp_f32_e32 v6, v6                                       // 000000004978: 7E0C4506
	v_rcp_f32_e32 v7, v7                                       // 00000000497C: 7E0E4507
	v_mul_f32_e32 v88, v88, v4                                 // 000000004980: 0AB00958
	v_mul_f32_e32 v89, v89, v5                                 // 000000004984: 0AB20B59
	v_mul_f32_e32 v90, v90, v6                                 // 000000004988: 0AB40D5A
	v_mul_f32_e32 v91, v91, v7                                 // 00000000498C: 0AB60F5B
	v_mul_f32_e32 v88, v88, v120                               // 000000004990: 0AB0F158
	v_mul_f32_e32 v89, v89, v121                               // 000000004994: 0AB2F359
	v_mul_f32_e32 v90, v90, v122                               // 000000004998: 0AB4F55A
	v_mul_f32_e32 v91, v91, v123                               // 00000000499C: 0AB6F75B
	v_mul_f32_e64 v4, -v92, s6                                 // 0000000049A0: D1050004 20000D5C
	v_mul_f32_e64 v5, -v93, s6                                 // 0000000049A8: D1050005 20000D5D
	v_mul_f32_e64 v6, -v94, s6                                 // 0000000049B0: D1050006 20000D5E
	v_mul_f32_e64 v7, -v95, s6                                 // 0000000049B8: D1050007 20000D5F
	v_exp_f32_e32 v4, v4                                       // 0000000049C0: 7E084104
	v_exp_f32_e32 v5, v5                                       // 0000000049C4: 7E0A4105
	v_exp_f32_e32 v6, v6                                       // 0000000049C8: 7E0C4106
	v_exp_f32_e32 v7, v7                                       // 0000000049CC: 7E0E4107
	v_add_f32_e64 v4, v4, 1.0                                  // 0000000049D0: D1010004 0001E504
	v_add_f32_e64 v5, v5, 1.0                                  // 0000000049D8: D1010005 0001E505
	v_add_f32_e64 v6, v6, 1.0                                  // 0000000049E0: D1010006 0001E506
	v_add_f32_e64 v7, v7, 1.0                                  // 0000000049E8: D1010007 0001E507
	v_rcp_f32_e32 v4, v4                                       // 0000000049F0: 7E084504
	v_rcp_f32_e32 v5, v5                                       // 0000000049F4: 7E0A4505
	v_rcp_f32_e32 v6, v6                                       // 0000000049F8: 7E0C4506
	v_rcp_f32_e32 v7, v7                                       // 0000000049FC: 7E0E4507
	v_mul_f32_e32 v92, v92, v4                                 // 000000004A00: 0AB8095C
	v_mul_f32_e32 v93, v93, v5                                 // 000000004A04: 0ABA0B5D
	v_mul_f32_e32 v94, v94, v6                                 // 000000004A08: 0ABC0D5E
	v_mul_f32_e32 v95, v95, v7                                 // 000000004A0C: 0ABE0F5F
	v_mul_f32_e32 v92, v92, v124                               // 000000004A10: 0AB8F95C
	v_mul_f32_e32 v93, v93, v125                               // 000000004A14: 0ABAFB5D
	v_mul_f32_e32 v94, v94, v126                               // 000000004A18: 0ABCFD5E
	v_mul_f32_e32 v95, v95, v127                               // 000000004A1C: 0ABEFF5F
	v_mul_f32_e64 v4, -v96, s6                                 // 000000004A20: D1050004 20000D60
	v_mul_f32_e64 v5, -v97, s6                                 // 000000004A28: D1050005 20000D61
	v_mul_f32_e64 v6, -v98, s6                                 // 000000004A30: D1050006 20000D62
	v_mul_f32_e64 v7, -v99, s6                                 // 000000004A38: D1050007 20000D63
	v_exp_f32_e32 v4, v4                                       // 000000004A40: 7E084104
	v_exp_f32_e32 v5, v5                                       // 000000004A44: 7E0A4105
	v_exp_f32_e32 v6, v6                                       // 000000004A48: 7E0C4106
	v_exp_f32_e32 v7, v7                                       // 000000004A4C: 7E0E4107
	v_add_f32_e64 v4, v4, 1.0                                  // 000000004A50: D1010004 0001E504
	v_add_f32_e64 v5, v5, 1.0                                  // 000000004A58: D1010005 0001E505
	v_add_f32_e64 v6, v6, 1.0                                  // 000000004A60: D1010006 0001E506
	v_add_f32_e64 v7, v7, 1.0                                  // 000000004A68: D1010007 0001E507
	v_rcp_f32_e32 v4, v4                                       // 000000004A70: 7E084504
	v_rcp_f32_e32 v5, v5                                       // 000000004A74: 7E0A4505
	v_rcp_f32_e32 v6, v6                                       // 000000004A78: 7E0C4506
	v_rcp_f32_e32 v7, v7                                       // 000000004A7C: 7E0E4507
	v_mul_f32_e32 v96, v96, v4                                 // 000000004A80: 0AC00960
	v_mul_f32_e32 v97, v97, v5                                 // 000000004A84: 0AC20B61
	v_mul_f32_e32 v98, v98, v6                                 // 000000004A88: 0AC40D62
	v_mul_f32_e32 v99, v99, v7                                 // 000000004A8C: 0AC60F63
	v_mul_f32_e32 v96, v96, v128                               // 000000004A90: 0AC10160
	v_mul_f32_e32 v97, v97, v129                               // 000000004A94: 0AC30361
	v_mul_f32_e32 v98, v98, v130                               // 000000004A98: 0AC50562
	v_mul_f32_e32 v99, v99, v131                               // 000000004A9C: 0AC70763
	v_mul_f32_e64 v4, -v100, s6                                // 000000004AA0: D1050004 20000D64
	v_mul_f32_e64 v5, -v101, s6                                // 000000004AA8: D1050005 20000D65
	v_mul_f32_e64 v6, -v102, s6                                // 000000004AB0: D1050006 20000D66
	v_mul_f32_e64 v7, -v103, s6                                // 000000004AB8: D1050007 20000D67
	v_exp_f32_e32 v4, v4                                       // 000000004AC0: 7E084104
	v_exp_f32_e32 v5, v5                                       // 000000004AC4: 7E0A4105
	v_exp_f32_e32 v6, v6                                       // 000000004AC8: 7E0C4106
	v_exp_f32_e32 v7, v7                                       // 000000004ACC: 7E0E4107
	v_add_f32_e64 v4, v4, 1.0                                  // 000000004AD0: D1010004 0001E504
	v_add_f32_e64 v5, v5, 1.0                                  // 000000004AD8: D1010005 0001E505
	v_add_f32_e64 v6, v6, 1.0                                  // 000000004AE0: D1010006 0001E506
	v_add_f32_e64 v7, v7, 1.0                                  // 000000004AE8: D1010007 0001E507
	v_rcp_f32_e32 v4, v4                                       // 000000004AF0: 7E084504
	v_rcp_f32_e32 v5, v5                                       // 000000004AF4: 7E0A4505
	v_rcp_f32_e32 v6, v6                                       // 000000004AF8: 7E0C4506
	v_rcp_f32_e32 v7, v7                                       // 000000004AFC: 7E0E4507
	v_mul_f32_e32 v100, v100, v4                               // 000000004B00: 0AC80964
	v_mul_f32_e32 v101, v101, v5                               // 000000004B04: 0ACA0B65
	v_mul_f32_e32 v102, v102, v6                               // 000000004B08: 0ACC0D66
	v_mul_f32_e32 v103, v103, v7                               // 000000004B0C: 0ACE0F67
	v_mul_f32_e32 v100, v100, v132                             // 000000004B10: 0AC90964
	v_mul_f32_e32 v101, v101, v133                             // 000000004B14: 0ACB0B65
	v_mul_f32_e32 v102, v102, v134                             // 000000004B18: 0ACD0D66
	v_mul_f32_e32 v103, v103, v135                             // 000000004B1C: 0ACF0F67
	v_mul_f32_e64 v4, -v104, s6                                // 000000004B20: D1050004 20000D68
	v_mul_f32_e64 v5, -v105, s6                                // 000000004B28: D1050005 20000D69
	v_mul_f32_e64 v6, -v106, s6                                // 000000004B30: D1050006 20000D6A
	v_mul_f32_e64 v7, -v107, s6                                // 000000004B38: D1050007 20000D6B
	v_exp_f32_e32 v4, v4                                       // 000000004B40: 7E084104
	v_exp_f32_e32 v5, v5                                       // 000000004B44: 7E0A4105
	v_exp_f32_e32 v6, v6                                       // 000000004B48: 7E0C4106
	v_exp_f32_e32 v7, v7                                       // 000000004B4C: 7E0E4107
	v_add_f32_e64 v4, v4, 1.0                                  // 000000004B50: D1010004 0001E504
	v_add_f32_e64 v5, v5, 1.0                                  // 000000004B58: D1010005 0001E505
	v_add_f32_e64 v6, v6, 1.0                                  // 000000004B60: D1010006 0001E506
	v_add_f32_e64 v7, v7, 1.0                                  // 000000004B68: D1010007 0001E507
	v_rcp_f32_e32 v4, v4                                       // 000000004B70: 7E084504
	v_rcp_f32_e32 v5, v5                                       // 000000004B74: 7E0A4505
	v_rcp_f32_e32 v6, v6                                       // 000000004B78: 7E0C4506
	v_rcp_f32_e32 v7, v7                                       // 000000004B7C: 7E0E4507
	v_mul_f32_e32 v104, v104, v4                               // 000000004B80: 0AD00968
	v_mul_f32_e32 v105, v105, v5                               // 000000004B84: 0AD20B69
	v_mul_f32_e32 v106, v106, v6                               // 000000004B88: 0AD40D6A
	v_mul_f32_e32 v107, v107, v7                               // 000000004B8C: 0AD60F6B
	v_mul_f32_e32 v104, v104, v136                             // 000000004B90: 0AD11168
	v_mul_f32_e32 v105, v105, v137                             // 000000004B94: 0AD31369
	v_mul_f32_e32 v106, v106, v138                             // 000000004B98: 0AD5156A
	v_mul_f32_e32 v107, v107, v139                             // 000000004B9C: 0AD7176B
	v_mul_f32_e64 v4, -v108, s6                                // 000000004BA0: D1050004 20000D6C
	v_mul_f32_e64 v5, -v109, s6                                // 000000004BA8: D1050005 20000D6D
	v_mul_f32_e64 v6, -v110, s6                                // 000000004BB0: D1050006 20000D6E
	v_mul_f32_e64 v7, -v111, s6                                // 000000004BB8: D1050007 20000D6F
	v_exp_f32_e32 v4, v4                                       // 000000004BC0: 7E084104
	v_exp_f32_e32 v5, v5                                       // 000000004BC4: 7E0A4105
	v_exp_f32_e32 v6, v6                                       // 000000004BC8: 7E0C4106
	v_exp_f32_e32 v7, v7                                       // 000000004BCC: 7E0E4107
	v_add_f32_e64 v4, v4, 1.0                                  // 000000004BD0: D1010004 0001E504
	v_add_f32_e64 v5, v5, 1.0                                  // 000000004BD8: D1010005 0001E505
	v_add_f32_e64 v6, v6, 1.0                                  // 000000004BE0: D1010006 0001E506
	v_add_f32_e64 v7, v7, 1.0                                  // 000000004BE8: D1010007 0001E507
	v_rcp_f32_e32 v4, v4                                       // 000000004BF0: 7E084504
	v_rcp_f32_e32 v5, v5                                       // 000000004BF4: 7E0A4505
	v_rcp_f32_e32 v6, v6                                       // 000000004BF8: 7E0C4506
	v_rcp_f32_e32 v7, v7                                       // 000000004BFC: 7E0E4507
	v_mul_f32_e32 v108, v108, v4                               // 000000004C00: 0AD8096C
	v_mul_f32_e32 v109, v109, v5                               // 000000004C04: 0ADA0B6D
	v_mul_f32_e32 v110, v110, v6                               // 000000004C08: 0ADC0D6E
	v_mul_f32_e32 v111, v111, v7                               // 000000004C0C: 0ADE0F6F
	v_mul_f32_e32 v108, v108, v140                             // 000000004C10: 0AD9196C
	v_mul_f32_e32 v109, v109, v141                             // 000000004C14: 0ADB1B6D
	v_mul_f32_e32 v110, v110, v142                             // 000000004C18: 0ADD1D6E
	v_mul_f32_e32 v111, v111, v143                             // 000000004C1C: 0ADF1F6F

0000000000004c20 <label_0888>:
	v_cmp_u_f32_e64 s[46:47], v80, v80                         // 000000004C20: D048002E 0002A150
	v_add3_u32 v16, v80, v19, 1                                // 000000004C28: D1FF0010 02062750
	v_cndmask_b32_e64 v4, v16, v18, s[46:47]                   // 000000004C30: D1000004 00BA2510
	v_cmp_u_f32_e64 s[46:47], v81, v81                         // 000000004C38: D048002E 0002A351
	v_add3_u32 v16, v81, v19, 1                                // 000000004C40: D1FF0010 02062751
	v_cndmask_b32_e64 v5, v16, v18, s[46:47]                   // 000000004C48: D1000005 00BA2510
	v_perm_b32 v80, v5, v4, s52                                // 000000004C50: D1ED0050 00D20905
	v_cmp_u_f32_e64 s[46:47], v82, v82                         // 000000004C58: D048002E 0002A552
	v_add3_u32 v16, v82, v19, 1                                // 000000004C60: D1FF0010 02062752
	v_cndmask_b32_e64 v4, v16, v18, s[46:47]                   // 000000004C68: D1000004 00BA2510
	v_cmp_u_f32_e64 s[46:47], v83, v83                         // 000000004C70: D048002E 0002A753
	v_add3_u32 v16, v83, v19, 1                                // 000000004C78: D1FF0010 02062753
	v_cndmask_b32_e64 v5, v16, v18, s[46:47]                   // 000000004C80: D1000005 00BA2510
	v_perm_b32 v81, v5, v4, s52                                // 000000004C88: D1ED0051 00D20905
	v_cmp_u_f32_e64 s[46:47], v84, v84                         // 000000004C90: D048002E 0002A954
	v_add3_u32 v16, v84, v19, 1                                // 000000004C98: D1FF0010 02062754
	v_cndmask_b32_e64 v4, v16, v18, s[46:47]                   // 000000004CA0: D1000004 00BA2510
	v_cmp_u_f32_e64 s[46:47], v85, v85                         // 000000004CA8: D048002E 0002AB55
	v_add3_u32 v16, v85, v19, 1                                // 000000004CB0: D1FF0010 02062755
	v_cndmask_b32_e64 v5, v16, v18, s[46:47]                   // 000000004CB8: D1000005 00BA2510
	v_perm_b32 v82, v5, v4, s52                                // 000000004CC0: D1ED0052 00D20905
	v_cmp_u_f32_e64 s[46:47], v86, v86                         // 000000004CC8: D048002E 0002AD56
	v_add3_u32 v16, v86, v19, 1                                // 000000004CD0: D1FF0010 02062756
	v_cndmask_b32_e64 v4, v16, v18, s[46:47]                   // 000000004CD8: D1000004 00BA2510
	v_cmp_u_f32_e64 s[46:47], v87, v87                         // 000000004CE0: D048002E 0002AF57
	v_add3_u32 v16, v87, v19, 1                                // 000000004CE8: D1FF0010 02062757
	v_cndmask_b32_e64 v5, v16, v18, s[46:47]                   // 000000004CF0: D1000005 00BA2510
	v_perm_b32 v83, v5, v4, s52                                // 000000004CF8: D1ED0053 00D20905
	v_cmp_u_f32_e64 s[46:47], v88, v88                         // 000000004D00: D048002E 0002B158
	v_add3_u32 v16, v88, v19, 1                                // 000000004D08: D1FF0010 02062758
	v_cndmask_b32_e64 v4, v16, v18, s[46:47]                   // 000000004D10: D1000004 00BA2510
	v_cmp_u_f32_e64 s[46:47], v89, v89                         // 000000004D18: D048002E 0002B359
	v_add3_u32 v16, v89, v19, 1                                // 000000004D20: D1FF0010 02062759
	v_cndmask_b32_e64 v5, v16, v18, s[46:47]                   // 000000004D28: D1000005 00BA2510
	v_perm_b32 v84, v5, v4, s52                                // 000000004D30: D1ED0054 00D20905
	v_cmp_u_f32_e64 s[46:47], v90, v90                         // 000000004D38: D048002E 0002B55A
	v_add3_u32 v16, v90, v19, 1                                // 000000004D40: D1FF0010 0206275A
	v_cndmask_b32_e64 v4, v16, v18, s[46:47]                   // 000000004D48: D1000004 00BA2510
	v_cmp_u_f32_e64 s[46:47], v91, v91                         // 000000004D50: D048002E 0002B75B
	v_add3_u32 v16, v91, v19, 1                                // 000000004D58: D1FF0010 0206275B
	v_cndmask_b32_e64 v5, v16, v18, s[46:47]                   // 000000004D60: D1000005 00BA2510
	v_perm_b32 v85, v5, v4, s52                                // 000000004D68: D1ED0055 00D20905
	v_cmp_u_f32_e64 s[46:47], v92, v92                         // 000000004D70: D048002E 0002B95C
	v_add3_u32 v16, v92, v19, 1                                // 000000004D78: D1FF0010 0206275C
	v_cndmask_b32_e64 v4, v16, v18, s[46:47]                   // 000000004D80: D1000004 00BA2510
	v_cmp_u_f32_e64 s[46:47], v93, v93                         // 000000004D88: D048002E 0002BB5D
	v_add3_u32 v16, v93, v19, 1                                // 000000004D90: D1FF0010 0206275D
	v_cndmask_b32_e64 v5, v16, v18, s[46:47]                   // 000000004D98: D1000005 00BA2510
	v_perm_b32 v86, v5, v4, s52                                // 000000004DA0: D1ED0056 00D20905
	v_cmp_u_f32_e64 s[46:47], v94, v94                         // 000000004DA8: D048002E 0002BD5E
	v_add3_u32 v16, v94, v19, 1                                // 000000004DB0: D1FF0010 0206275E
	v_cndmask_b32_e64 v4, v16, v18, s[46:47]                   // 000000004DB8: D1000004 00BA2510
	v_cmp_u_f32_e64 s[46:47], v95, v95                         // 000000004DC0: D048002E 0002BF5F
	v_add3_u32 v16, v95, v19, 1                                // 000000004DC8: D1FF0010 0206275F
	v_cndmask_b32_e64 v5, v16, v18, s[46:47]                   // 000000004DD0: D1000005 00BA2510
	v_perm_b32 v87, v5, v4, s52                                // 000000004DD8: D1ED0057 00D20905
	v_cmp_u_f32_e64 s[46:47], v96, v96                         // 000000004DE0: D048002E 0002C160
	v_add3_u32 v16, v96, v19, 1                                // 000000004DE8: D1FF0010 02062760
	v_cndmask_b32_e64 v4, v16, v18, s[46:47]                   // 000000004DF0: D1000004 00BA2510
	v_cmp_u_f32_e64 s[46:47], v97, v97                         // 000000004DF8: D048002E 0002C361
	v_add3_u32 v16, v97, v19, 1                                // 000000004E00: D1FF0010 02062761
	v_cndmask_b32_e64 v5, v16, v18, s[46:47]                   // 000000004E08: D1000005 00BA2510
	v_perm_b32 v88, v5, v4, s52                                // 000000004E10: D1ED0058 00D20905
	v_cmp_u_f32_e64 s[46:47], v98, v98                         // 000000004E18: D048002E 0002C562
	v_add3_u32 v16, v98, v19, 1                                // 000000004E20: D1FF0010 02062762
	v_cndmask_b32_e64 v4, v16, v18, s[46:47]                   // 000000004E28: D1000004 00BA2510
	v_cmp_u_f32_e64 s[46:47], v99, v99                         // 000000004E30: D048002E 0002C763
	v_add3_u32 v16, v99, v19, 1                                // 000000004E38: D1FF0010 02062763
	v_cndmask_b32_e64 v5, v16, v18, s[46:47]                   // 000000004E40: D1000005 00BA2510
	v_perm_b32 v89, v5, v4, s52                                // 000000004E48: D1ED0059 00D20905
	v_cmp_u_f32_e64 s[46:47], v100, v100                       // 000000004E50: D048002E 0002C964
	v_add3_u32 v16, v100, v19, 1                               // 000000004E58: D1FF0010 02062764
	v_cndmask_b32_e64 v4, v16, v18, s[46:47]                   // 000000004E60: D1000004 00BA2510
	v_cmp_u_f32_e64 s[46:47], v101, v101                       // 000000004E68: D048002E 0002CB65
	v_add3_u32 v16, v101, v19, 1                               // 000000004E70: D1FF0010 02062765
	v_cndmask_b32_e64 v5, v16, v18, s[46:47]                   // 000000004E78: D1000005 00BA2510
	v_perm_b32 v90, v5, v4, s52                                // 000000004E80: D1ED005A 00D20905
	v_cmp_u_f32_e64 s[46:47], v102, v102                       // 000000004E88: D048002E 0002CD66
	v_add3_u32 v16, v102, v19, 1                               // 000000004E90: D1FF0010 02062766
	v_cndmask_b32_e64 v4, v16, v18, s[46:47]                   // 000000004E98: D1000004 00BA2510
	v_cmp_u_f32_e64 s[46:47], v103, v103                       // 000000004EA0: D048002E 0002CF67
	v_add3_u32 v16, v103, v19, 1                               // 000000004EA8: D1FF0010 02062767
	v_cndmask_b32_e64 v5, v16, v18, s[46:47]                   // 000000004EB0: D1000005 00BA2510
	v_perm_b32 v91, v5, v4, s52                                // 000000004EB8: D1ED005B 00D20905
	v_cmp_u_f32_e64 s[46:47], v104, v104                       // 000000004EC0: D048002E 0002D168
	v_add3_u32 v16, v104, v19, 1                               // 000000004EC8: D1FF0010 02062768
	v_cndmask_b32_e64 v4, v16, v18, s[46:47]                   // 000000004ED0: D1000004 00BA2510
	v_cmp_u_f32_e64 s[46:47], v105, v105                       // 000000004ED8: D048002E 0002D369
	v_add3_u32 v16, v105, v19, 1                               // 000000004EE0: D1FF0010 02062769
	v_cndmask_b32_e64 v5, v16, v18, s[46:47]                   // 000000004EE8: D1000005 00BA2510
	v_perm_b32 v92, v5, v4, s52                                // 000000004EF0: D1ED005C 00D20905
	v_cmp_u_f32_e64 s[46:47], v106, v106                       // 000000004EF8: D048002E 0002D56A
	v_add3_u32 v16, v106, v19, 1                               // 000000004F00: D1FF0010 0206276A
	v_cndmask_b32_e64 v4, v16, v18, s[46:47]                   // 000000004F08: D1000004 00BA2510
	v_cmp_u_f32_e64 s[46:47], v107, v107                       // 000000004F10: D048002E 0002D76B
	v_add3_u32 v16, v107, v19, 1                               // 000000004F18: D1FF0010 0206276B
	v_cndmask_b32_e64 v5, v16, v18, s[46:47]                   // 000000004F20: D1000005 00BA2510
	v_perm_b32 v93, v5, v4, s52                                // 000000004F28: D1ED005D 00D20905
	v_cmp_u_f32_e64 s[46:47], v108, v108                       // 000000004F30: D048002E 0002D96C
	v_add3_u32 v16, v108, v19, 1                               // 000000004F38: D1FF0010 0206276C
	v_cndmask_b32_e64 v4, v16, v18, s[46:47]                   // 000000004F40: D1000004 00BA2510
	v_cmp_u_f32_e64 s[46:47], v109, v109                       // 000000004F48: D048002E 0002DB6D
	v_add3_u32 v16, v109, v19, 1                               // 000000004F50: D1FF0010 0206276D
	v_cndmask_b32_e64 v5, v16, v18, s[46:47]                   // 000000004F58: D1000005 00BA2510
	v_perm_b32 v94, v5, v4, s52                                // 000000004F60: D1ED005E 00D20905
	v_cmp_u_f32_e64 s[46:47], v110, v110                       // 000000004F68: D048002E 0002DD6E
	v_add3_u32 v16, v110, v19, 1                               // 000000004F70: D1FF0010 0206276E
	v_cndmask_b32_e64 v4, v16, v18, s[46:47]                   // 000000004F78: D1000004 00BA2510
	v_cmp_u_f32_e64 s[46:47], v111, v111                       // 000000004F80: D048002E 0002DF6F
	v_add3_u32 v16, v111, v19, 1                               // 000000004F88: D1FF0010 0206276F
	v_cndmask_b32_e64 v5, v16, v18, s[46:47]                   // 000000004F90: D1000005 00BA2510
	v_perm_b32 v95, v5, v4, s52                                // 000000004F98: D1ED005F 00D20905
	ds_write_b64 v20, v[80:81]                                 // 000000004FA0: D89A0000 00005014
	ds_write_b64 v20, v[82:83] offset:2176                     // 000000004FA8: D89A0880 00005214
	ds_write_b64 v20, v[84:85] offset:4352                     // 000000004FB0: D89A1100 00005414
	ds_write_b64 v20, v[86:87] offset:6528                     // 000000004FB8: D89A1980 00005614
	ds_write_b64 v20, v[88:89] offset:8704                     // 000000004FC0: D89A2200 00005814
	ds_write_b64 v20, v[90:91] offset:10880                    // 000000004FC8: D89A2A80 00005A14
	ds_write_b64 v20, v[92:93] offset:13056                    // 000000004FD0: D89A3300 00005C14
	ds_write_b64 v20, v[94:95] offset:15232                    // 000000004FD8: D89A3B80 00005E14
	v_lshrrev_b32_e32 v4, 5, v0                                // 000000004FE0: 20080085
	v_xor_b32_e32 v5, 1, v4                                    // 000000004FE4: 2A0A0881
	s_mul_i32 s60, s65, 2                                      // 000000004FE8: 923C8241
	s_cmp_eq_u32 s88, 0                                        // 000000004FEC: BF068058
	s_cselect_b32 s61, 1, 4                                    // 000000004FF0: 853D8481
	s_mul_i32 s60, s61, s60                                    // 000000004FF4: 923C3C3D
	v_readlane_b32 s82, v3, 0                                  // 000000004FF8: D2890052 00010103
	s_lshr_b32 s61, s82, 24                                    // 000000005000: 8F3D9852
	s_and_b32 s82, s82, 0xffffff                               // 000000005004: 8652FF52 00FFFFFF
	s_mul_i32 s82, s82, s71                                    // 00000000500C: 92524752
	s_mul_i32 s61, s60, s61                                    // 000000005010: 923D3D3C
	s_add_u32 s82, s82, s61                                    // 000000005014: 80523D52
	v_mul_lo_u32 v6, v5, s82                                   // 000000005018: D2850006 0000A505
	v_readlane_b32 s82, v3, 1                                  // 000000005020: D2890052 00010303
	s_lshr_b32 s61, s82, 24                                    // 000000005028: 8F3D9852
	s_and_b32 s82, s82, 0xffffff                               // 00000000502C: 8652FF52 00FFFFFF
	s_mul_i32 s82, s82, s71                                    // 000000005034: 92524752
	s_mul_i32 s61, s60, s61                                    // 000000005038: 923D3D3C
	s_add_u32 s82, s82, s61                                    // 00000000503C: 80523D52
	v_mul_lo_u32 v7, v4, s82                                   // 000000005040: D2850007 0000A504
	v_add_u32_e32 v60, v6, v7                                  // 000000005048: 68780F06
	v_readlane_b32 s82, v3, 2                                  // 00000000504C: D2890052 00010503
	s_lshr_b32 s61, s82, 24                                    // 000000005054: 8F3D9852
	s_and_b32 s82, s82, 0xffffff                               // 000000005058: 8652FF52 00FFFFFF
	s_mul_i32 s82, s82, s71                                    // 000000005060: 92524752
	s_mul_i32 s61, s60, s61                                    // 000000005064: 923D3D3C
	s_add_u32 s82, s82, s61                                    // 000000005068: 80523D52
	v_mul_lo_u32 v6, v5, s82                                   // 00000000506C: D2850006 0000A505
	v_readlane_b32 s82, v3, 3                                  // 000000005074: D2890052 00010703
	s_lshr_b32 s61, s82, 24                                    // 00000000507C: 8F3D9852
	s_and_b32 s82, s82, 0xffffff                               // 000000005080: 8652FF52 00FFFFFF
	s_mul_i32 s82, s82, s71                                    // 000000005088: 92524752
	s_mul_i32 s61, s60, s61                                    // 00000000508C: 923D3D3C
	s_add_u32 s82, s82, s61                                    // 000000005090: 80523D52
	v_mul_lo_u32 v7, v4, s82                                   // 000000005094: D2850007 0000A504
	v_add_u32_e32 v61, v6, v7                                  // 00000000509C: 687A0F06
	v_readlane_b32 s82, v3, 4                                  // 0000000050A0: D2890052 00010903
	s_lshr_b32 s61, s82, 24                                    // 0000000050A8: 8F3D9852
	s_and_b32 s82, s82, 0xffffff                               // 0000000050AC: 8652FF52 00FFFFFF
	s_mul_i32 s82, s82, s71                                    // 0000000050B4: 92524752
	s_mul_i32 s61, s60, s61                                    // 0000000050B8: 923D3D3C
	s_add_u32 s82, s82, s61                                    // 0000000050BC: 80523D52
	v_mul_lo_u32 v6, v5, s82                                   // 0000000050C0: D2850006 0000A505
	v_readlane_b32 s82, v3, 5                                  // 0000000050C8: D2890052 00010B03
	s_lshr_b32 s61, s82, 24                                    // 0000000050D0: 8F3D9852
	s_and_b32 s82, s82, 0xffffff                               // 0000000050D4: 8652FF52 00FFFFFF
	s_mul_i32 s82, s82, s71                                    // 0000000050DC: 92524752
	s_mul_i32 s61, s60, s61                                    // 0000000050E0: 923D3D3C
	s_add_u32 s82, s82, s61                                    // 0000000050E4: 80523D52
	v_mul_lo_u32 v7, v4, s82                                   // 0000000050E8: D2850007 0000A504
	v_add_u32_e32 v62, v6, v7                                  // 0000000050F0: 687C0F06
	v_readlane_b32 s82, v3, 6                                  // 0000000050F4: D2890052 00010D03
	s_lshr_b32 s61, s82, 24                                    // 0000000050FC: 8F3D9852
	s_and_b32 s82, s82, 0xffffff                               // 000000005100: 8652FF52 00FFFFFF
	s_mul_i32 s82, s82, s71                                    // 000000005108: 92524752
	s_mul_i32 s61, s60, s61                                    // 00000000510C: 923D3D3C
	s_add_u32 s82, s82, s61                                    // 000000005110: 80523D52
	v_mul_lo_u32 v6, v5, s82                                   // 000000005114: D2850006 0000A505
	v_readlane_b32 s82, v3, 7                                  // 00000000511C: D2890052 00010F03
	s_lshr_b32 s61, s82, 24                                    // 000000005124: 8F3D9852
	s_and_b32 s82, s82, 0xffffff                               // 000000005128: 8652FF52 00FFFFFF
	s_mul_i32 s82, s82, s71                                    // 000000005130: 92524752
	s_mul_i32 s61, s60, s61                                    // 000000005134: 923D3D3C
	s_add_u32 s82, s82, s61                                    // 000000005138: 80523D52
	v_mul_lo_u32 v7, v4, s82                                   // 00000000513C: D2850007 0000A504
	v_add_u32_e32 v63, v6, v7                                  // 000000005144: 687E0F06
	v_readlane_b32 s82, v3, 8                                  // 000000005148: D2890052 00011103
	s_lshr_b32 s61, s82, 24                                    // 000000005150: 8F3D9852
	s_and_b32 s82, s82, 0xffffff                               // 000000005154: 8652FF52 00FFFFFF
	s_mul_i32 s82, s82, s71                                    // 00000000515C: 92524752
	s_mul_i32 s61, s60, s61                                    // 000000005160: 923D3D3C
	s_add_u32 s82, s82, s61                                    // 000000005164: 80523D52
	v_mul_lo_u32 v6, v5, s82                                   // 000000005168: D2850006 0000A505
	v_readlane_b32 s82, v3, 9                                  // 000000005170: D2890052 00011303
	s_lshr_b32 s61, s82, 24                                    // 000000005178: 8F3D9852
	s_and_b32 s82, s82, 0xffffff                               // 00000000517C: 8652FF52 00FFFFFF
	s_mul_i32 s82, s82, s71                                    // 000000005184: 92524752
	s_mul_i32 s61, s60, s61                                    // 000000005188: 923D3D3C
	s_add_u32 s82, s82, s61                                    // 00000000518C: 80523D52
	v_mul_lo_u32 v7, v4, s82                                   // 000000005190: D2850007 0000A504
	v_add_u32_e32 v64, v6, v7                                  // 000000005198: 68800F06
	v_readlane_b32 s82, v3, 10                                 // 00000000519C: D2890052 00011503
	s_lshr_b32 s61, s82, 24                                    // 0000000051A4: 8F3D9852
	s_and_b32 s82, s82, 0xffffff                               // 0000000051A8: 8652FF52 00FFFFFF
	s_mul_i32 s82, s82, s71                                    // 0000000051B0: 92524752
	s_mul_i32 s61, s60, s61                                    // 0000000051B4: 923D3D3C
	s_add_u32 s82, s82, s61                                    // 0000000051B8: 80523D52
	v_mul_lo_u32 v6, v5, s82                                   // 0000000051BC: D2850006 0000A505
	v_readlane_b32 s82, v3, 11                                 // 0000000051C4: D2890052 00011703
	s_lshr_b32 s61, s82, 24                                    // 0000000051CC: 8F3D9852
	s_and_b32 s82, s82, 0xffffff                               // 0000000051D0: 8652FF52 00FFFFFF
	s_mul_i32 s82, s82, s71                                    // 0000000051D8: 92524752
	s_mul_i32 s61, s60, s61                                    // 0000000051DC: 923D3D3C
	s_add_u32 s82, s82, s61                                    // 0000000051E0: 80523D52
	v_mul_lo_u32 v7, v4, s82                                   // 0000000051E4: D2850007 0000A504
	v_add_u32_e32 v65, v6, v7                                  // 0000000051EC: 68820F06
	v_readlane_b32 s82, v3, 12                                 // 0000000051F0: D2890052 00011903
	s_lshr_b32 s61, s82, 24                                    // 0000000051F8: 8F3D9852
	s_and_b32 s82, s82, 0xffffff                               // 0000000051FC: 8652FF52 00FFFFFF
	s_mul_i32 s82, s82, s71                                    // 000000005204: 92524752
	s_mul_i32 s61, s60, s61                                    // 000000005208: 923D3D3C
	s_add_u32 s82, s82, s61                                    // 00000000520C: 80523D52
	v_mul_lo_u32 v6, v5, s82                                   // 000000005210: D2850006 0000A505
	v_readlane_b32 s82, v3, 13                                 // 000000005218: D2890052 00011B03
	s_lshr_b32 s61, s82, 24                                    // 000000005220: 8F3D9852
	s_and_b32 s82, s82, 0xffffff                               // 000000005224: 8652FF52 00FFFFFF
	s_mul_i32 s82, s82, s71                                    // 00000000522C: 92524752
	s_mul_i32 s61, s60, s61                                    // 000000005230: 923D3D3C
	s_add_u32 s82, s82, s61                                    // 000000005234: 80523D52
	v_mul_lo_u32 v7, v4, s82                                   // 000000005238: D2850007 0000A504
	v_add_u32_e32 v66, v6, v7                                  // 000000005240: 68840F06
	v_readlane_b32 s82, v3, 14                                 // 000000005244: D2890052 00011D03
	s_lshr_b32 s61, s82, 24                                    // 00000000524C: 8F3D9852
	s_and_b32 s82, s82, 0xffffff                               // 000000005250: 8652FF52 00FFFFFF
	s_mul_i32 s82, s82, s71                                    // 000000005258: 92524752
	s_mul_i32 s61, s60, s61                                    // 00000000525C: 923D3D3C
	s_add_u32 s82, s82, s61                                    // 000000005260: 80523D52
	v_mul_lo_u32 v6, v5, s82                                   // 000000005264: D2850006 0000A505
	v_readlane_b32 s82, v3, 15                                 // 00000000526C: D2890052 00011F03
	s_lshr_b32 s61, s82, 24                                    // 000000005274: 8F3D9852
	s_and_b32 s82, s82, 0xffffff                               // 000000005278: 8652FF52 00FFFFFF
	s_mul_i32 s82, s82, s71                                    // 000000005280: 92524752
	s_mul_i32 s61, s60, s61                                    // 000000005284: 923D3D3C
	s_add_u32 s82, s82, s61                                    // 000000005288: 80523D52
	v_mul_lo_u32 v7, v4, s82                                   // 00000000528C: D2850007 0000A504
	v_add_u32_e32 v67, v6, v7                                  // 000000005294: 68860F06
	v_readlane_b32 s82, v3, 16                                 // 000000005298: D2890052 00012103
	s_lshr_b32 s61, s82, 24                                    // 0000000052A0: 8F3D9852
	s_and_b32 s82, s82, 0xffffff                               // 0000000052A4: 8652FF52 00FFFFFF
	s_mul_i32 s82, s82, s71                                    // 0000000052AC: 92524752
	s_mul_i32 s61, s60, s61                                    // 0000000052B0: 923D3D3C
	s_add_u32 s82, s82, s61                                    // 0000000052B4: 80523D52
	v_mul_lo_u32 v6, v5, s82                                   // 0000000052B8: D2850006 0000A505
	v_readlane_b32 s82, v3, 17                                 // 0000000052C0: D2890052 00012303
	s_lshr_b32 s61, s82, 24                                    // 0000000052C8: 8F3D9852
	s_and_b32 s82, s82, 0xffffff                               // 0000000052CC: 8652FF52 00FFFFFF
	s_mul_i32 s82, s82, s71                                    // 0000000052D4: 92524752
	s_mul_i32 s61, s60, s61                                    // 0000000052D8: 923D3D3C
	s_add_u32 s82, s82, s61                                    // 0000000052DC: 80523D52
	v_mul_lo_u32 v7, v4, s82                                   // 0000000052E0: D2850007 0000A504
	v_add_u32_e32 v68, v6, v7                                  // 0000000052E8: 68880F06
	v_readlane_b32 s82, v3, 18                                 // 0000000052EC: D2890052 00012503
	s_lshr_b32 s61, s82, 24                                    // 0000000052F4: 8F3D9852
	s_and_b32 s82, s82, 0xffffff                               // 0000000052F8: 8652FF52 00FFFFFF
	s_mul_i32 s82, s82, s71                                    // 000000005300: 92524752
	s_mul_i32 s61, s60, s61                                    // 000000005304: 923D3D3C
	s_add_u32 s82, s82, s61                                    // 000000005308: 80523D52
	v_mul_lo_u32 v6, v5, s82                                   // 00000000530C: D2850006 0000A505
	v_readlane_b32 s82, v3, 19                                 // 000000005314: D2890052 00012703
	s_lshr_b32 s61, s82, 24                                    // 00000000531C: 8F3D9852
	s_and_b32 s82, s82, 0xffffff                               // 000000005320: 8652FF52 00FFFFFF
	s_mul_i32 s82, s82, s71                                    // 000000005328: 92524752
	s_mul_i32 s61, s60, s61                                    // 00000000532C: 923D3D3C
	s_add_u32 s82, s82, s61                                    // 000000005330: 80523D52
	v_mul_lo_u32 v7, v4, s82                                   // 000000005334: D2850007 0000A504
	v_add_u32_e32 v69, v6, v7                                  // 00000000533C: 688A0F06
	v_readlane_b32 s82, v3, 20                                 // 000000005340: D2890052 00012903
	s_lshr_b32 s61, s82, 24                                    // 000000005348: 8F3D9852
	s_and_b32 s82, s82, 0xffffff                               // 00000000534C: 8652FF52 00FFFFFF
	s_mul_i32 s82, s82, s71                                    // 000000005354: 92524752
	s_mul_i32 s61, s60, s61                                    // 000000005358: 923D3D3C
	s_add_u32 s82, s82, s61                                    // 00000000535C: 80523D52
	v_mul_lo_u32 v6, v5, s82                                   // 000000005360: D2850006 0000A505
	v_readlane_b32 s82, v3, 21                                 // 000000005368: D2890052 00012B03
	s_lshr_b32 s61, s82, 24                                    // 000000005370: 8F3D9852
	s_and_b32 s82, s82, 0xffffff                               // 000000005374: 8652FF52 00FFFFFF
	s_mul_i32 s82, s82, s71                                    // 00000000537C: 92524752
	s_mul_i32 s61, s60, s61                                    // 000000005380: 923D3D3C
	s_add_u32 s82, s82, s61                                    // 000000005384: 80523D52
	v_mul_lo_u32 v7, v4, s82                                   // 000000005388: D2850007 0000A504
	v_add_u32_e32 v70, v6, v7                                  // 000000005390: 688C0F06
	v_readlane_b32 s82, v3, 22                                 // 000000005394: D2890052 00012D03
	s_lshr_b32 s61, s82, 24                                    // 00000000539C: 8F3D9852
	s_and_b32 s82, s82, 0xffffff                               // 0000000053A0: 8652FF52 00FFFFFF
	s_mul_i32 s82, s82, s71                                    // 0000000053A8: 92524752
	s_mul_i32 s61, s60, s61                                    // 0000000053AC: 923D3D3C
	s_add_u32 s82, s82, s61                                    // 0000000053B0: 80523D52
	v_mul_lo_u32 v6, v5, s82                                   // 0000000053B4: D2850006 0000A505
	v_readlane_b32 s82, v3, 23                                 // 0000000053BC: D2890052 00012F03
	s_lshr_b32 s61, s82, 24                                    // 0000000053C4: 8F3D9852
	s_and_b32 s82, s82, 0xffffff                               // 0000000053C8: 8652FF52 00FFFFFF
	s_mul_i32 s82, s82, s71                                    // 0000000053D0: 92524752
	s_mul_i32 s61, s60, s61                                    // 0000000053D4: 923D3D3C
	s_add_u32 s82, s82, s61                                    // 0000000053D8: 80523D52
	v_mul_lo_u32 v7, v4, s82                                   // 0000000053DC: D2850007 0000A504
	v_add_u32_e32 v71, v6, v7                                  // 0000000053E4: 688E0F06
	v_readlane_b32 s82, v3, 24                                 // 0000000053E8: D2890052 00013103
	s_lshr_b32 s61, s82, 24                                    // 0000000053F0: 8F3D9852
	s_and_b32 s82, s82, 0xffffff                               // 0000000053F4: 8652FF52 00FFFFFF
	s_mul_i32 s82, s82, s71                                    // 0000000053FC: 92524752
	s_mul_i32 s61, s60, s61                                    // 000000005400: 923D3D3C
	s_add_u32 s82, s82, s61                                    // 000000005404: 80523D52
	v_mul_lo_u32 v6, v5, s82                                   // 000000005408: D2850006 0000A505
	v_readlane_b32 s82, v3, 25                                 // 000000005410: D2890052 00013303
	s_lshr_b32 s61, s82, 24                                    // 000000005418: 8F3D9852
	s_and_b32 s82, s82, 0xffffff                               // 00000000541C: 8652FF52 00FFFFFF
	s_mul_i32 s82, s82, s71                                    // 000000005424: 92524752
	s_mul_i32 s61, s60, s61                                    // 000000005428: 923D3D3C
	s_add_u32 s82, s82, s61                                    // 00000000542C: 80523D52
	v_mul_lo_u32 v7, v4, s82                                   // 000000005430: D2850007 0000A504
	v_add_u32_e32 v72, v6, v7                                  // 000000005438: 68900F06
	v_readlane_b32 s82, v3, 26                                 // 00000000543C: D2890052 00013503
	s_lshr_b32 s61, s82, 24                                    // 000000005444: 8F3D9852
	s_and_b32 s82, s82, 0xffffff                               // 000000005448: 8652FF52 00FFFFFF
	s_mul_i32 s82, s82, s71                                    // 000000005450: 92524752
	s_mul_i32 s61, s60, s61                                    // 000000005454: 923D3D3C
	s_add_u32 s82, s82, s61                                    // 000000005458: 80523D52
	v_mul_lo_u32 v6, v5, s82                                   // 00000000545C: D2850006 0000A505
	v_readlane_b32 s82, v3, 27                                 // 000000005464: D2890052 00013703
	s_lshr_b32 s61, s82, 24                                    // 00000000546C: 8F3D9852
	s_and_b32 s82, s82, 0xffffff                               // 000000005470: 8652FF52 00FFFFFF
	s_mul_i32 s82, s82, s71                                    // 000000005478: 92524752
	s_mul_i32 s61, s60, s61                                    // 00000000547C: 923D3D3C
	s_add_u32 s82, s82, s61                                    // 000000005480: 80523D52
	v_mul_lo_u32 v7, v4, s82                                   // 000000005484: D2850007 0000A504
	v_add_u32_e32 v73, v6, v7                                  // 00000000548C: 68920F06
	v_readlane_b32 s82, v3, 28                                 // 000000005490: D2890052 00013903
	s_lshr_b32 s61, s82, 24                                    // 000000005498: 8F3D9852
	s_and_b32 s82, s82, 0xffffff                               // 00000000549C: 8652FF52 00FFFFFF
	s_mul_i32 s82, s82, s71                                    // 0000000054A4: 92524752
	s_mul_i32 s61, s60, s61                                    // 0000000054A8: 923D3D3C
	s_add_u32 s82, s82, s61                                    // 0000000054AC: 80523D52
	v_mul_lo_u32 v6, v5, s82                                   // 0000000054B0: D2850006 0000A505
	v_readlane_b32 s82, v3, 29                                 // 0000000054B8: D2890052 00013B03
	s_lshr_b32 s61, s82, 24                                    // 0000000054C0: 8F3D9852
	s_and_b32 s82, s82, 0xffffff                               // 0000000054C4: 8652FF52 00FFFFFF
	s_mul_i32 s82, s82, s71                                    // 0000000054CC: 92524752
	s_mul_i32 s61, s60, s61                                    // 0000000054D0: 923D3D3C
	s_add_u32 s82, s82, s61                                    // 0000000054D4: 80523D52
	v_mul_lo_u32 v7, v4, s82                                   // 0000000054D8: D2850007 0000A504
	v_add_u32_e32 v74, v6, v7                                  // 0000000054E0: 68940F06
	v_readlane_b32 s82, v3, 30                                 // 0000000054E4: D2890052 00013D03
	s_lshr_b32 s61, s82, 24                                    // 0000000054EC: 8F3D9852
	s_and_b32 s82, s82, 0xffffff                               // 0000000054F0: 8652FF52 00FFFFFF
	s_mul_i32 s82, s82, s71                                    // 0000000054F8: 92524752
	s_mul_i32 s61, s60, s61                                    // 0000000054FC: 923D3D3C
	s_add_u32 s82, s82, s61                                    // 000000005500: 80523D52
	v_mul_lo_u32 v6, v5, s82                                   // 000000005504: D2850006 0000A505
	v_readlane_b32 s82, v3, 31                                 // 00000000550C: D2890052 00013F03
	s_lshr_b32 s61, s82, 24                                    // 000000005514: 8F3D9852
	s_and_b32 s82, s82, 0xffffff                               // 000000005518: 8652FF52 00FFFFFF
	s_mul_i32 s82, s82, s71                                    // 000000005520: 92524752
	s_mul_i32 s61, s60, s61                                    // 000000005524: 923D3D3C
	s_add_u32 s82, s82, s61                                    // 000000005528: 80523D52
	v_mul_lo_u32 v7, v4, s82                                   // 00000000552C: D2850007 0000A504
	v_add_u32_e32 v75, v6, v7                                  // 000000005534: 68960F06
	v_and_b32_e32 v4, 31, v0                                   // 000000005538: 2608009F
	v_lshrrev_b32_e32 v4, 1, v4                                // 00000000553C: 20080881
	s_cmp_eq_u32 s88, 0                                        // 000000005540: BF068058
	s_cselect_b32 s61, 2, 4                                    // 000000005544: 853D8482
	v_mul_lo_u32 v4, v4, s61                                   // 000000005548: D2850004 00007B04
	v_and_b32_e64 v5, v0, 1                                    // 000000005550: D1130005 00010300
	v_add_u32_e32 v4, v4, v5                                   // 000000005558: 68080B04
	v_lshlrev_b32_e32 v4, 2, v4                                // 00000000555C: 24080882
	v_add_u32_e32 v60, v60, v4                                 // 000000005560: 6878093C
	v_add_u32_e32 v61, v61, v4                                 // 000000005564: 687A093D
	v_add_u32_e32 v62, v62, v4                                 // 000000005568: 687C093E
	v_add_u32_e32 v63, v63, v4                                 // 00000000556C: 687E093F
	v_add_u32_e32 v64, v64, v4                                 // 000000005570: 68800940
	v_add_u32_e32 v65, v65, v4                                 // 000000005574: 68820941
	;; [unrolled: 1-line block ×3, first 2 shown]
	v_add_u32_e32 v67, v67, v4                                 // 00000000557C: 68860943
	v_add_u32_e32 v68, v68, v4                                 // 000000005580: 68880944
	v_add_u32_e32 v69, v69, v4                                 // 000000005584: 688A0945
	v_add_u32_e32 v70, v70, v4                                 // 000000005588: 688C0946
	v_add_u32_e32 v71, v71, v4                                 // 00000000558C: 688E0947
	v_add_u32_e32 v72, v72, v4                                 // 000000005590: 68900948
	v_add_u32_e32 v73, v73, v4                                 // 000000005594: 68920949
	v_add_u32_e32 v74, v74, v4                                 // 000000005598: 6894094A
	v_add_u32_e32 v75, v75, v4                                 // 00000000559C: 6896094B
	s_waitcnt lgkmcnt(0)                                       // 0000000055A0: BF8CC07F
	s_barrier                                                  // 0000000055A4: BF8A0000
	ds_read_b32 v80, v21                                       // 0000000055A8: D86C0000 50000015
	ds_read_b32 v81, v21 offset:64                             // 0000000055B0: D86C0040 51000015
	ds_read_b32 v82, v21 offset:2176                           // 0000000055B8: D86C0880 52000015
	ds_read_b32 v83, v21 offset:2240                           // 0000000055C0: D86C08C0 53000015
	ds_read_b32 v84, v21 offset:4352                           // 0000000055C8: D86C1100 54000015
	ds_read_b32 v85, v21 offset:4416                           // 0000000055D0: D86C1140 55000015
	ds_read_b32 v86, v21 offset:6528                           // 0000000055D8: D86C1980 56000015
	ds_read_b32 v87, v21 offset:6592                           // 0000000055E0: D86C19C0 57000015
	ds_read_b32 v88, v21 offset:8704                           // 0000000055E8: D86C2200 58000015
	ds_read_b32 v89, v21 offset:8768                           // 0000000055F0: D86C2240 59000015
	ds_read_b32 v90, v21 offset:10880                          // 0000000055F8: D86C2A80 5A000015
	ds_read_b32 v91, v21 offset:10944                          // 000000005600: D86C2AC0 5B000015
	ds_read_b32 v92, v21 offset:13056                          // 000000005608: D86C3300 5C000015
	ds_read_b32 v93, v21 offset:13120                          // 000000005610: D86C3340 5D000015
	ds_read_b32 v94, v21 offset:15232                          // 000000005618: D86C3B80 5E000015
	ds_read_b32 v95, v21 offset:15296                          // 000000005620: D86C3BC0 5F000015
	s_waitcnt lgkmcnt(0)                                       // 000000005628: BF8CC07F
	s_mov_b32 s36, -1                                          // 00000000562C: BEA400C1
	s_mov_b32 s37, -1                                          // 000000005630: BEA500C1
	v_mov_b32_e32 v7, 0                                        // 000000005634: 7E0E0280
	s_or_b32 s9, s9, 0x40000                                   // 000000005638: 8709FF09 00040000
	s_mov_b64 exec, s[36:37]                                   // 000000005640: BEFE0124
	v_mov_b32_e32 v6, v60                                      // 000000005644: 7E0C033C
	s_mov_b64 s[60:61], 0                                      // 000000005648: BEBC0180
	v_readlane_b32 s82, v3, 0                                  // 00000000564C: D2890052 00010103
	s_and_b32 s82, s82, 0xffffff                               // 000000005654: 8652FF52 00FFFFFF
	s_cmp_lt_u32 s82, s66                                      // 00000000565C: BF0A4252
	s_cselect_b32 s20, s36, s60                                // 000000005660: 85143C24
	v_readlane_b32 s82, v3, 1                                  // 000000005664: D2890052 00010303
	s_and_b32 s82, s82, 0xffffff                               // 00000000566C: 8652FF52 00FFFFFF
	s_cmp_lt_u32 s82, s66                                      // 000000005674: BF0A4252
	s_cselect_b32 s21, s36, s60                                // 000000005678: 85153C24
	s_mov_b64 exec, s[20:21]                                   // 00000000567C: BEFE0114
	buffer_store_dword v80, v6, s[8:11], 0 offen               // 000000005680: E0701000 80025006
	s_mov_b64 exec, s[36:37]                                   // 000000005688: BEFE0124
	v_mov_b32_e32 v6, v61                                      // 00000000568C: 7E0C033D
	s_mov_b64 s[60:61], 0                                      // 000000005690: BEBC0180
	v_readlane_b32 s82, v3, 2                                  // 000000005694: D2890052 00010503
	s_and_b32 s82, s82, 0xffffff                               // 00000000569C: 8652FF52 00FFFFFF
	s_cmp_lt_u32 s82, s66                                      // 0000000056A4: BF0A4252
	s_cselect_b32 s20, s36, s60                                // 0000000056A8: 85143C24
	v_readlane_b32 s82, v3, 3                                  // 0000000056AC: D2890052 00010703
	s_and_b32 s82, s82, 0xffffff                               // 0000000056B4: 8652FF52 00FFFFFF
	s_cmp_lt_u32 s82, s66                                      // 0000000056BC: BF0A4252
	s_cselect_b32 s21, s36, s60                                // 0000000056C0: 85153C24
	s_mov_b64 exec, s[20:21]                                   // 0000000056C4: BEFE0114
	buffer_store_dword v81, v6, s[8:11], 0 offen               // 0000000056C8: E0701000 80025106
	s_mov_b64 exec, s[36:37]                                   // 0000000056D0: BEFE0124
	v_mov_b32_e32 v6, v62                                      // 0000000056D4: 7E0C033E
	s_mov_b64 s[60:61], 0                                      // 0000000056D8: BEBC0180
	v_readlane_b32 s82, v3, 4                                  // 0000000056DC: D2890052 00010903
	s_and_b32 s82, s82, 0xffffff                               // 0000000056E4: 8652FF52 00FFFFFF
	s_cmp_lt_u32 s82, s66                                      // 0000000056EC: BF0A4252
	s_cselect_b32 s20, s36, s60                                // 0000000056F0: 85143C24
	v_readlane_b32 s82, v3, 5                                  // 0000000056F4: D2890052 00010B03
	s_and_b32 s82, s82, 0xffffff                               // 0000000056FC: 8652FF52 00FFFFFF
	s_cmp_lt_u32 s82, s66                                      // 000000005704: BF0A4252
	s_cselect_b32 s21, s36, s60                                // 000000005708: 85153C24
	s_mov_b64 exec, s[20:21]                                   // 00000000570C: BEFE0114
	buffer_store_dword v82, v6, s[8:11], 0 offen               // 000000005710: E0701000 80025206
	s_mov_b64 exec, s[36:37]                                   // 000000005718: BEFE0124
	v_mov_b32_e32 v6, v63                                      // 00000000571C: 7E0C033F
	s_mov_b64 s[60:61], 0                                      // 000000005720: BEBC0180
	v_readlane_b32 s82, v3, 6                                  // 000000005724: D2890052 00010D03
	s_and_b32 s82, s82, 0xffffff                               // 00000000572C: 8652FF52 00FFFFFF
	s_cmp_lt_u32 s82, s66                                      // 000000005734: BF0A4252
	s_cselect_b32 s20, s36, s60                                // 000000005738: 85143C24
	v_readlane_b32 s82, v3, 7                                  // 00000000573C: D2890052 00010F03
	s_and_b32 s82, s82, 0xffffff                               // 000000005744: 8652FF52 00FFFFFF
	s_cmp_lt_u32 s82, s66                                      // 00000000574C: BF0A4252
	s_cselect_b32 s21, s36, s60                                // 000000005750: 85153C24
	s_mov_b64 exec, s[20:21]                                   // 000000005754: BEFE0114
	buffer_store_dword v83, v6, s[8:11], 0 offen               // 000000005758: E0701000 80025306
	s_mov_b64 exec, s[36:37]                                   // 000000005760: BEFE0124
	v_mov_b32_e32 v6, v64                                      // 000000005764: 7E0C0340
	s_mov_b64 s[60:61], 0                                      // 000000005768: BEBC0180
	v_readlane_b32 s82, v3, 8                                  // 00000000576C: D2890052 00011103
	s_and_b32 s82, s82, 0xffffff                               // 000000005774: 8652FF52 00FFFFFF
	s_cmp_lt_u32 s82, s66                                      // 00000000577C: BF0A4252
	s_cselect_b32 s20, s36, s60                                // 000000005780: 85143C24
	v_readlane_b32 s82, v3, 9                                  // 000000005784: D2890052 00011303
	s_and_b32 s82, s82, 0xffffff                               // 00000000578C: 8652FF52 00FFFFFF
	s_cmp_lt_u32 s82, s66                                      // 000000005794: BF0A4252
	s_cselect_b32 s21, s36, s60                                // 000000005798: 85153C24
	s_mov_b64 exec, s[20:21]                                   // 00000000579C: BEFE0114
	buffer_store_dword v84, v6, s[8:11], 0 offen               // 0000000057A0: E0701000 80025406
	s_mov_b64 exec, s[36:37]                                   // 0000000057A8: BEFE0124
	v_mov_b32_e32 v6, v65                                      // 0000000057AC: 7E0C0341
	s_mov_b64 s[60:61], 0                                      // 0000000057B0: BEBC0180
	v_readlane_b32 s82, v3, 10                                 // 0000000057B4: D2890052 00011503
	s_and_b32 s82, s82, 0xffffff                               // 0000000057BC: 8652FF52 00FFFFFF
	s_cmp_lt_u32 s82, s66                                      // 0000000057C4: BF0A4252
	s_cselect_b32 s20, s36, s60                                // 0000000057C8: 85143C24
	v_readlane_b32 s82, v3, 11                                 // 0000000057CC: D2890052 00011703
	s_and_b32 s82, s82, 0xffffff                               // 0000000057D4: 8652FF52 00FFFFFF
	s_cmp_lt_u32 s82, s66                                      // 0000000057DC: BF0A4252
	s_cselect_b32 s21, s36, s60                                // 0000000057E0: 85153C24
	s_mov_b64 exec, s[20:21]                                   // 0000000057E4: BEFE0114
	buffer_store_dword v85, v6, s[8:11], 0 offen               // 0000000057E8: E0701000 80025506
	s_mov_b64 exec, s[36:37]                                   // 0000000057F0: BEFE0124
	v_mov_b32_e32 v6, v66                                      // 0000000057F4: 7E0C0342
	s_mov_b64 s[60:61], 0                                      // 0000000057F8: BEBC0180
	v_readlane_b32 s82, v3, 12                                 // 0000000057FC: D2890052 00011903
	s_and_b32 s82, s82, 0xffffff                               // 000000005804: 8652FF52 00FFFFFF
	s_cmp_lt_u32 s82, s66                                      // 00000000580C: BF0A4252
	s_cselect_b32 s20, s36, s60                                // 000000005810: 85143C24
	v_readlane_b32 s82, v3, 13                                 // 000000005814: D2890052 00011B03
	s_and_b32 s82, s82, 0xffffff                               // 00000000581C: 8652FF52 00FFFFFF
	s_cmp_lt_u32 s82, s66                                      // 000000005824: BF0A4252
	s_cselect_b32 s21, s36, s60                                // 000000005828: 85153C24
	s_mov_b64 exec, s[20:21]                                   // 00000000582C: BEFE0114
	buffer_store_dword v86, v6, s[8:11], 0 offen               // 000000005830: E0701000 80025606
	s_mov_b64 exec, s[36:37]                                   // 000000005838: BEFE0124
	v_mov_b32_e32 v6, v67                                      // 00000000583C: 7E0C0343
	s_mov_b64 s[60:61], 0                                      // 000000005840: BEBC0180
	v_readlane_b32 s82, v3, 14                                 // 000000005844: D2890052 00011D03
	s_and_b32 s82, s82, 0xffffff                               // 00000000584C: 8652FF52 00FFFFFF
	s_cmp_lt_u32 s82, s66                                      // 000000005854: BF0A4252
	s_cselect_b32 s20, s36, s60                                // 000000005858: 85143C24
	v_readlane_b32 s82, v3, 15                                 // 00000000585C: D2890052 00011F03
	s_and_b32 s82, s82, 0xffffff                               // 000000005864: 8652FF52 00FFFFFF
	s_cmp_lt_u32 s82, s66                                      // 00000000586C: BF0A4252
	s_cselect_b32 s21, s36, s60                                // 000000005870: 85153C24
	s_mov_b64 exec, s[20:21]                                   // 000000005874: BEFE0114
	buffer_store_dword v87, v6, s[8:11], 0 offen               // 000000005878: E0701000 80025706
	s_mov_b64 exec, s[36:37]                                   // 000000005880: BEFE0124
	v_mov_b32_e32 v6, v68                                      // 000000005884: 7E0C0344
	s_mov_b64 s[60:61], 0                                      // 000000005888: BEBC0180
	v_readlane_b32 s82, v3, 16                                 // 00000000588C: D2890052 00012103
	s_and_b32 s82, s82, 0xffffff                               // 000000005894: 8652FF52 00FFFFFF
	s_cmp_lt_u32 s82, s66                                      // 00000000589C: BF0A4252
	s_cselect_b32 s20, s36, s60                                // 0000000058A0: 85143C24
	v_readlane_b32 s82, v3, 17                                 // 0000000058A4: D2890052 00012303
	s_and_b32 s82, s82, 0xffffff                               // 0000000058AC: 8652FF52 00FFFFFF
	s_cmp_lt_u32 s82, s66                                      // 0000000058B4: BF0A4252
	s_cselect_b32 s21, s36, s60                                // 0000000058B8: 85153C24
	s_mov_b64 exec, s[20:21]                                   // 0000000058BC: BEFE0114
	buffer_store_dword v88, v6, s[8:11], 0 offen               // 0000000058C0: E0701000 80025806
	s_mov_b64 exec, s[36:37]                                   // 0000000058C8: BEFE0124
	v_mov_b32_e32 v6, v69                                      // 0000000058CC: 7E0C0345
	s_mov_b64 s[60:61], 0                                      // 0000000058D0: BEBC0180
	v_readlane_b32 s82, v3, 18                                 // 0000000058D4: D2890052 00012503
	s_and_b32 s82, s82, 0xffffff                               // 0000000058DC: 8652FF52 00FFFFFF
	s_cmp_lt_u32 s82, s66                                      // 0000000058E4: BF0A4252
	s_cselect_b32 s20, s36, s60                                // 0000000058E8: 85143C24
	v_readlane_b32 s82, v3, 19                                 // 0000000058EC: D2890052 00012703
	s_and_b32 s82, s82, 0xffffff                               // 0000000058F4: 8652FF52 00FFFFFF
	s_cmp_lt_u32 s82, s66                                      // 0000000058FC: BF0A4252
	s_cselect_b32 s21, s36, s60                                // 000000005900: 85153C24
	s_mov_b64 exec, s[20:21]                                   // 000000005904: BEFE0114
	buffer_store_dword v89, v6, s[8:11], 0 offen               // 000000005908: E0701000 80025906
	s_mov_b64 exec, s[36:37]                                   // 000000005910: BEFE0124
	v_mov_b32_e32 v6, v70                                      // 000000005914: 7E0C0346
	s_mov_b64 s[60:61], 0                                      // 000000005918: BEBC0180
	v_readlane_b32 s82, v3, 20                                 // 00000000591C: D2890052 00012903
	s_and_b32 s82, s82, 0xffffff                               // 000000005924: 8652FF52 00FFFFFF
	s_cmp_lt_u32 s82, s66                                      // 00000000592C: BF0A4252
	s_cselect_b32 s20, s36, s60                                // 000000005930: 85143C24
	v_readlane_b32 s82, v3, 21                                 // 000000005934: D2890052 00012B03
	s_and_b32 s82, s82, 0xffffff                               // 00000000593C: 8652FF52 00FFFFFF
	s_cmp_lt_u32 s82, s66                                      // 000000005944: BF0A4252
	s_cselect_b32 s21, s36, s60                                // 000000005948: 85153C24
	s_mov_b64 exec, s[20:21]                                   // 00000000594C: BEFE0114
	buffer_store_dword v90, v6, s[8:11], 0 offen               // 000000005950: E0701000 80025A06
	s_mov_b64 exec, s[36:37]                                   // 000000005958: BEFE0124
	v_mov_b32_e32 v6, v71                                      // 00000000595C: 7E0C0347
	s_mov_b64 s[60:61], 0                                      // 000000005960: BEBC0180
	v_readlane_b32 s82, v3, 22                                 // 000000005964: D2890052 00012D03
	s_and_b32 s82, s82, 0xffffff                               // 00000000596C: 8652FF52 00FFFFFF
	s_cmp_lt_u32 s82, s66                                      // 000000005974: BF0A4252
	s_cselect_b32 s20, s36, s60                                // 000000005978: 85143C24
	v_readlane_b32 s82, v3, 23                                 // 00000000597C: D2890052 00012F03
	s_and_b32 s82, s82, 0xffffff                               // 000000005984: 8652FF52 00FFFFFF
	s_cmp_lt_u32 s82, s66                                      // 00000000598C: BF0A4252
	s_cselect_b32 s21, s36, s60                                // 000000005990: 85153C24
	s_mov_b64 exec, s[20:21]                                   // 000000005994: BEFE0114
	buffer_store_dword v91, v6, s[8:11], 0 offen               // 000000005998: E0701000 80025B06
	s_mov_b64 exec, s[36:37]                                   // 0000000059A0: BEFE0124
	v_mov_b32_e32 v6, v72                                      // 0000000059A4: 7E0C0348
	s_mov_b64 s[60:61], 0                                      // 0000000059A8: BEBC0180
	v_readlane_b32 s82, v3, 24                                 // 0000000059AC: D2890052 00013103
	s_and_b32 s82, s82, 0xffffff                               // 0000000059B4: 8652FF52 00FFFFFF
	s_cmp_lt_u32 s82, s66                                      // 0000000059BC: BF0A4252
	s_cselect_b32 s20, s36, s60                                // 0000000059C0: 85143C24
	v_readlane_b32 s82, v3, 25                                 // 0000000059C4: D2890052 00013303
	s_and_b32 s82, s82, 0xffffff                               // 0000000059CC: 8652FF52 00FFFFFF
	s_cmp_lt_u32 s82, s66                                      // 0000000059D4: BF0A4252
	s_cselect_b32 s21, s36, s60                                // 0000000059D8: 85153C24
	s_mov_b64 exec, s[20:21]                                   // 0000000059DC: BEFE0114
	buffer_store_dword v92, v6, s[8:11], 0 offen               // 0000000059E0: E0701000 80025C06
	s_mov_b64 exec, s[36:37]                                   // 0000000059E8: BEFE0124
	v_mov_b32_e32 v6, v73                                      // 0000000059EC: 7E0C0349
	s_mov_b64 s[60:61], 0                                      // 0000000059F0: BEBC0180
	v_readlane_b32 s82, v3, 26                                 // 0000000059F4: D2890052 00013503
	s_and_b32 s82, s82, 0xffffff                               // 0000000059FC: 8652FF52 00FFFFFF
	s_cmp_lt_u32 s82, s66                                      // 000000005A04: BF0A4252
	s_cselect_b32 s20, s36, s60                                // 000000005A08: 85143C24
	v_readlane_b32 s82, v3, 27                                 // 000000005A0C: D2890052 00013703
	s_and_b32 s82, s82, 0xffffff                               // 000000005A14: 8652FF52 00FFFFFF
	s_cmp_lt_u32 s82, s66                                      // 000000005A1C: BF0A4252
	s_cselect_b32 s21, s36, s60                                // 000000005A20: 85153C24
	s_mov_b64 exec, s[20:21]                                   // 000000005A24: BEFE0114
	buffer_store_dword v93, v6, s[8:11], 0 offen               // 000000005A28: E0701000 80025D06
	s_mov_b64 exec, s[36:37]                                   // 000000005A30: BEFE0124
	v_mov_b32_e32 v6, v74                                      // 000000005A34: 7E0C034A
	s_mov_b64 s[60:61], 0                                      // 000000005A38: BEBC0180
	v_readlane_b32 s82, v3, 28                                 // 000000005A3C: D2890052 00013903
	s_and_b32 s82, s82, 0xffffff                               // 000000005A44: 8652FF52 00FFFFFF
	s_cmp_lt_u32 s82, s66                                      // 000000005A4C: BF0A4252
	s_cselect_b32 s20, s36, s60                                // 000000005A50: 85143C24
	v_readlane_b32 s82, v3, 29                                 // 000000005A54: D2890052 00013B03
	s_and_b32 s82, s82, 0xffffff                               // 000000005A5C: 8652FF52 00FFFFFF
	s_cmp_lt_u32 s82, s66                                      // 000000005A64: BF0A4252
	s_cselect_b32 s21, s36, s60                                // 000000005A68: 85153C24
	s_mov_b64 exec, s[20:21]                                   // 000000005A6C: BEFE0114
	buffer_store_dword v94, v6, s[8:11], 0 offen               // 000000005A70: E0701000 80025E06
	s_mov_b64 exec, s[36:37]                                   // 000000005A78: BEFE0124
	v_mov_b32_e32 v6, v75                                      // 000000005A7C: 7E0C034B
	s_mov_b64 s[60:61], 0                                      // 000000005A80: BEBC0180
	v_readlane_b32 s82, v3, 30                                 // 000000005A84: D2890052 00013D03
	s_and_b32 s82, s82, 0xffffff                               // 000000005A8C: 8652FF52 00FFFFFF
	s_cmp_lt_u32 s82, s66                                      // 000000005A94: BF0A4252
	s_cselect_b32 s20, s36, s60                                // 000000005A98: 85143C24
	v_readlane_b32 s82, v3, 31                                 // 000000005A9C: D2890052 00013F03
	s_and_b32 s82, s82, 0xffffff                               // 000000005AA4: 8652FF52 00FFFFFF
	s_cmp_lt_u32 s82, s66                                      // 000000005AAC: BF0A4252
	s_cselect_b32 s21, s36, s60                                // 000000005AB0: 85153C24
	s_mov_b64 exec, s[20:21]                                   // 000000005AB4: BEFE0114
	buffer_store_dword v95, v6, s[8:11], 0 offen               // 000000005AB8: E0701000 80025F06
	s_mov_b64 exec, s[36:37]                                   // 000000005AC0: BEFE0124
	s_branch label_2293                                        // 000000005AC4: BF82165E

0000000000005ac8 <label_0C32>:
	ds_write_b64 v20, v[80:81]                                 // 000000005AC8: D89A0000 00005014
	ds_write_b64 v20, v[84:85] offset:2176                     // 000000005AD0: D89A0880 00005414
	ds_write_b64 v20, v[88:89] offset:4352                     // 000000005AD8: D89A1100 00005814
	ds_write_b64 v20, v[92:93] offset:6528                     // 000000005AE0: D89A1980 00005C14
	ds_write_b64 v20, v[96:97] offset:8704                     // 000000005AE8: D89A2200 00006014
	ds_write_b64 v20, v[100:101] offset:10880                  // 000000005AF0: D89A2A80 00006414
	ds_write_b64 v20, v[104:105] offset:13056                  // 000000005AF8: D89A3300 00006814
	ds_write_b64 v20, v[108:109] offset:15232                  // 000000005B00: D89A3B80 00006C14
	v_lshrrev_b32_e32 v4, 5, v0                                // 000000005B08: 20080085
	v_xor_b32_e32 v5, 1, v4                                    // 000000005B0C: 2A0A0881
	s_mul_i32 s60, s65, 2                                      // 000000005B10: 923C8241
	s_cmp_eq_u32 s88, 0                                        // 000000005B14: BF068058
	s_cselect_b32 s61, 1, 4                                    // 000000005B18: 853D8481
	s_mul_i32 s60, s61, s60                                    // 000000005B1C: 923C3C3D
	v_readlane_b32 s82, v3, 0                                  // 000000005B20: D2890052 00010103
	s_lshr_b32 s61, s82, 24                                    // 000000005B28: 8F3D9852
	s_and_b32 s82, s82, 0xffffff                               // 000000005B2C: 8652FF52 00FFFFFF
	s_mul_i32 s82, s82, s71                                    // 000000005B34: 92524752
	s_mul_i32 s61, s60, s61                                    // 000000005B38: 923D3D3C
	s_add_u32 s82, s82, s61                                    // 000000005B3C: 80523D52
	v_mul_lo_u32 v6, v5, s82                                   // 000000005B40: D2850006 0000A505
	v_readlane_b32 s82, v3, 1                                  // 000000005B48: D2890052 00010303
	s_lshr_b32 s61, s82, 24                                    // 000000005B50: 8F3D9852
	s_and_b32 s82, s82, 0xffffff                               // 000000005B54: 8652FF52 00FFFFFF
	s_mul_i32 s82, s82, s71                                    // 000000005B5C: 92524752
	s_mul_i32 s61, s60, s61                                    // 000000005B60: 923D3D3C
	s_add_u32 s82, s82, s61                                    // 000000005B64: 80523D52
	v_mul_lo_u32 v7, v4, s82                                   // 000000005B68: D2850007 0000A504
	v_add_u32_e32 v60, v6, v7                                  // 000000005B70: 68780F06
	v_readlane_b32 s82, v3, 2                                  // 000000005B74: D2890052 00010503
	s_lshr_b32 s61, s82, 24                                    // 000000005B7C: 8F3D9852
	s_and_b32 s82, s82, 0xffffff                               // 000000005B80: 8652FF52 00FFFFFF
	s_mul_i32 s82, s82, s71                                    // 000000005B88: 92524752
	s_mul_i32 s61, s60, s61                                    // 000000005B8C: 923D3D3C
	s_add_u32 s82, s82, s61                                    // 000000005B90: 80523D52
	v_mul_lo_u32 v6, v5, s82                                   // 000000005B94: D2850006 0000A505
	v_readlane_b32 s82, v3, 3                                  // 000000005B9C: D2890052 00010703
	s_lshr_b32 s61, s82, 24                                    // 000000005BA4: 8F3D9852
	s_and_b32 s82, s82, 0xffffff                               // 000000005BA8: 8652FF52 00FFFFFF
	s_mul_i32 s82, s82, s71                                    // 000000005BB0: 92524752
	s_mul_i32 s61, s60, s61                                    // 000000005BB4: 923D3D3C
	s_add_u32 s82, s82, s61                                    // 000000005BB8: 80523D52
	v_mul_lo_u32 v7, v4, s82                                   // 000000005BBC: D2850007 0000A504
	v_add_u32_e32 v61, v6, v7                                  // 000000005BC4: 687A0F06
	v_readlane_b32 s82, v3, 4                                  // 000000005BC8: D2890052 00010903
	s_lshr_b32 s61, s82, 24                                    // 000000005BD0: 8F3D9852
	s_and_b32 s82, s82, 0xffffff                               // 000000005BD4: 8652FF52 00FFFFFF
	s_mul_i32 s82, s82, s71                                    // 000000005BDC: 92524752
	s_mul_i32 s61, s60, s61                                    // 000000005BE0: 923D3D3C
	s_add_u32 s82, s82, s61                                    // 000000005BE4: 80523D52
	v_mul_lo_u32 v6, v5, s82                                   // 000000005BE8: D2850006 0000A505
	v_readlane_b32 s82, v3, 5                                  // 000000005BF0: D2890052 00010B03
	s_lshr_b32 s61, s82, 24                                    // 000000005BF8: 8F3D9852
	s_and_b32 s82, s82, 0xffffff                               // 000000005BFC: 8652FF52 00FFFFFF
	s_mul_i32 s82, s82, s71                                    // 000000005C04: 92524752
	s_mul_i32 s61, s60, s61                                    // 000000005C08: 923D3D3C
	s_add_u32 s82, s82, s61                                    // 000000005C0C: 80523D52
	v_mul_lo_u32 v7, v4, s82                                   // 000000005C10: D2850007 0000A504
	v_add_u32_e32 v62, v6, v7                                  // 000000005C18: 687C0F06
	v_readlane_b32 s82, v3, 6                                  // 000000005C1C: D2890052 00010D03
	s_lshr_b32 s61, s82, 24                                    // 000000005C24: 8F3D9852
	s_and_b32 s82, s82, 0xffffff                               // 000000005C28: 8652FF52 00FFFFFF
	s_mul_i32 s82, s82, s71                                    // 000000005C30: 92524752
	s_mul_i32 s61, s60, s61                                    // 000000005C34: 923D3D3C
	s_add_u32 s82, s82, s61                                    // 000000005C38: 80523D52
	v_mul_lo_u32 v6, v5, s82                                   // 000000005C3C: D2850006 0000A505
	v_readlane_b32 s82, v3, 7                                  // 000000005C44: D2890052 00010F03
	s_lshr_b32 s61, s82, 24                                    // 000000005C4C: 8F3D9852
	s_and_b32 s82, s82, 0xffffff                               // 000000005C50: 8652FF52 00FFFFFF
	s_mul_i32 s82, s82, s71                                    // 000000005C58: 92524752
	s_mul_i32 s61, s60, s61                                    // 000000005C5C: 923D3D3C
	s_add_u32 s82, s82, s61                                    // 000000005C60: 80523D52
	v_mul_lo_u32 v7, v4, s82                                   // 000000005C64: D2850007 0000A504
	v_add_u32_e32 v63, v6, v7                                  // 000000005C6C: 687E0F06
	v_readlane_b32 s82, v3, 8                                  // 000000005C70: D2890052 00011103
	s_lshr_b32 s61, s82, 24                                    // 000000005C78: 8F3D9852
	s_and_b32 s82, s82, 0xffffff                               // 000000005C7C: 8652FF52 00FFFFFF
	s_mul_i32 s82, s82, s71                                    // 000000005C84: 92524752
	s_mul_i32 s61, s60, s61                                    // 000000005C88: 923D3D3C
	s_add_u32 s82, s82, s61                                    // 000000005C8C: 80523D52
	v_mul_lo_u32 v6, v5, s82                                   // 000000005C90: D2850006 0000A505
	v_readlane_b32 s82, v3, 9                                  // 000000005C98: D2890052 00011303
	s_lshr_b32 s61, s82, 24                                    // 000000005CA0: 8F3D9852
	s_and_b32 s82, s82, 0xffffff                               // 000000005CA4: 8652FF52 00FFFFFF
	s_mul_i32 s82, s82, s71                                    // 000000005CAC: 92524752
	s_mul_i32 s61, s60, s61                                    // 000000005CB0: 923D3D3C
	s_add_u32 s82, s82, s61                                    // 000000005CB4: 80523D52
	v_mul_lo_u32 v7, v4, s82                                   // 000000005CB8: D2850007 0000A504
	v_add_u32_e32 v64, v6, v7                                  // 000000005CC0: 68800F06
	v_readlane_b32 s82, v3, 10                                 // 000000005CC4: D2890052 00011503
	s_lshr_b32 s61, s82, 24                                    // 000000005CCC: 8F3D9852
	s_and_b32 s82, s82, 0xffffff                               // 000000005CD0: 8652FF52 00FFFFFF
	s_mul_i32 s82, s82, s71                                    // 000000005CD8: 92524752
	s_mul_i32 s61, s60, s61                                    // 000000005CDC: 923D3D3C
	s_add_u32 s82, s82, s61                                    // 000000005CE0: 80523D52
	v_mul_lo_u32 v6, v5, s82                                   // 000000005CE4: D2850006 0000A505
	v_readlane_b32 s82, v3, 11                                 // 000000005CEC: D2890052 00011703
	s_lshr_b32 s61, s82, 24                                    // 000000005CF4: 8F3D9852
	s_and_b32 s82, s82, 0xffffff                               // 000000005CF8: 8652FF52 00FFFFFF
	s_mul_i32 s82, s82, s71                                    // 000000005D00: 92524752
	s_mul_i32 s61, s60, s61                                    // 000000005D04: 923D3D3C
	s_add_u32 s82, s82, s61                                    // 000000005D08: 80523D52
	v_mul_lo_u32 v7, v4, s82                                   // 000000005D0C: D2850007 0000A504
	v_add_u32_e32 v65, v6, v7                                  // 000000005D14: 68820F06
	v_readlane_b32 s82, v3, 12                                 // 000000005D18: D2890052 00011903
	s_lshr_b32 s61, s82, 24                                    // 000000005D20: 8F3D9852
	s_and_b32 s82, s82, 0xffffff                               // 000000005D24: 8652FF52 00FFFFFF
	s_mul_i32 s82, s82, s71                                    // 000000005D2C: 92524752
	s_mul_i32 s61, s60, s61                                    // 000000005D30: 923D3D3C
	s_add_u32 s82, s82, s61                                    // 000000005D34: 80523D52
	v_mul_lo_u32 v6, v5, s82                                   // 000000005D38: D2850006 0000A505
	v_readlane_b32 s82, v3, 13                                 // 000000005D40: D2890052 00011B03
	s_lshr_b32 s61, s82, 24                                    // 000000005D48: 8F3D9852
	s_and_b32 s82, s82, 0xffffff                               // 000000005D4C: 8652FF52 00FFFFFF
	s_mul_i32 s82, s82, s71                                    // 000000005D54: 92524752
	s_mul_i32 s61, s60, s61                                    // 000000005D58: 923D3D3C
	s_add_u32 s82, s82, s61                                    // 000000005D5C: 80523D52
	v_mul_lo_u32 v7, v4, s82                                   // 000000005D60: D2850007 0000A504
	v_add_u32_e32 v66, v6, v7                                  // 000000005D68: 68840F06
	v_readlane_b32 s82, v3, 14                                 // 000000005D6C: D2890052 00011D03
	s_lshr_b32 s61, s82, 24                                    // 000000005D74: 8F3D9852
	s_and_b32 s82, s82, 0xffffff                               // 000000005D78: 8652FF52 00FFFFFF
	s_mul_i32 s82, s82, s71                                    // 000000005D80: 92524752
	s_mul_i32 s61, s60, s61                                    // 000000005D84: 923D3D3C
	s_add_u32 s82, s82, s61                                    // 000000005D88: 80523D52
	v_mul_lo_u32 v6, v5, s82                                   // 000000005D8C: D2850006 0000A505
	v_readlane_b32 s82, v3, 15                                 // 000000005D94: D2890052 00011F03
	s_lshr_b32 s61, s82, 24                                    // 000000005D9C: 8F3D9852
	s_and_b32 s82, s82, 0xffffff                               // 000000005DA0: 8652FF52 00FFFFFF
	s_mul_i32 s82, s82, s71                                    // 000000005DA8: 92524752
	s_mul_i32 s61, s60, s61                                    // 000000005DAC: 923D3D3C
	s_add_u32 s82, s82, s61                                    // 000000005DB0: 80523D52
	v_mul_lo_u32 v7, v4, s82                                   // 000000005DB4: D2850007 0000A504
	v_add_u32_e32 v67, v6, v7                                  // 000000005DBC: 68860F06
	v_readlane_b32 s82, v3, 16                                 // 000000005DC0: D2890052 00012103
	s_lshr_b32 s61, s82, 24                                    // 000000005DC8: 8F3D9852
	s_and_b32 s82, s82, 0xffffff                               // 000000005DCC: 8652FF52 00FFFFFF
	s_mul_i32 s82, s82, s71                                    // 000000005DD4: 92524752
	s_mul_i32 s61, s60, s61                                    // 000000005DD8: 923D3D3C
	s_add_u32 s82, s82, s61                                    // 000000005DDC: 80523D52
	v_mul_lo_u32 v6, v5, s82                                   // 000000005DE0: D2850006 0000A505
	v_readlane_b32 s82, v3, 17                                 // 000000005DE8: D2890052 00012303
	s_lshr_b32 s61, s82, 24                                    // 000000005DF0: 8F3D9852
	s_and_b32 s82, s82, 0xffffff                               // 000000005DF4: 8652FF52 00FFFFFF
	s_mul_i32 s82, s82, s71                                    // 000000005DFC: 92524752
	s_mul_i32 s61, s60, s61                                    // 000000005E00: 923D3D3C
	s_add_u32 s82, s82, s61                                    // 000000005E04: 80523D52
	v_mul_lo_u32 v7, v4, s82                                   // 000000005E08: D2850007 0000A504
	v_add_u32_e32 v68, v6, v7                                  // 000000005E10: 68880F06
	v_readlane_b32 s82, v3, 18                                 // 000000005E14: D2890052 00012503
	s_lshr_b32 s61, s82, 24                                    // 000000005E1C: 8F3D9852
	s_and_b32 s82, s82, 0xffffff                               // 000000005E20: 8652FF52 00FFFFFF
	s_mul_i32 s82, s82, s71                                    // 000000005E28: 92524752
	s_mul_i32 s61, s60, s61                                    // 000000005E2C: 923D3D3C
	s_add_u32 s82, s82, s61                                    // 000000005E30: 80523D52
	v_mul_lo_u32 v6, v5, s82                                   // 000000005E34: D2850006 0000A505
	v_readlane_b32 s82, v3, 19                                 // 000000005E3C: D2890052 00012703
	s_lshr_b32 s61, s82, 24                                    // 000000005E44: 8F3D9852
	s_and_b32 s82, s82, 0xffffff                               // 000000005E48: 8652FF52 00FFFFFF
	s_mul_i32 s82, s82, s71                                    // 000000005E50: 92524752
	s_mul_i32 s61, s60, s61                                    // 000000005E54: 923D3D3C
	s_add_u32 s82, s82, s61                                    // 000000005E58: 80523D52
	v_mul_lo_u32 v7, v4, s82                                   // 000000005E5C: D2850007 0000A504
	v_add_u32_e32 v69, v6, v7                                  // 000000005E64: 688A0F06
	v_readlane_b32 s82, v3, 20                                 // 000000005E68: D2890052 00012903
	s_lshr_b32 s61, s82, 24                                    // 000000005E70: 8F3D9852
	s_and_b32 s82, s82, 0xffffff                               // 000000005E74: 8652FF52 00FFFFFF
	s_mul_i32 s82, s82, s71                                    // 000000005E7C: 92524752
	s_mul_i32 s61, s60, s61                                    // 000000005E80: 923D3D3C
	s_add_u32 s82, s82, s61                                    // 000000005E84: 80523D52
	v_mul_lo_u32 v6, v5, s82                                   // 000000005E88: D2850006 0000A505
	v_readlane_b32 s82, v3, 21                                 // 000000005E90: D2890052 00012B03
	s_lshr_b32 s61, s82, 24                                    // 000000005E98: 8F3D9852
	s_and_b32 s82, s82, 0xffffff                               // 000000005E9C: 8652FF52 00FFFFFF
	s_mul_i32 s82, s82, s71                                    // 000000005EA4: 92524752
	s_mul_i32 s61, s60, s61                                    // 000000005EA8: 923D3D3C
	s_add_u32 s82, s82, s61                                    // 000000005EAC: 80523D52
	v_mul_lo_u32 v7, v4, s82                                   // 000000005EB0: D2850007 0000A504
	v_add_u32_e32 v70, v6, v7                                  // 000000005EB8: 688C0F06
	v_readlane_b32 s82, v3, 22                                 // 000000005EBC: D2890052 00012D03
	s_lshr_b32 s61, s82, 24                                    // 000000005EC4: 8F3D9852
	s_and_b32 s82, s82, 0xffffff                               // 000000005EC8: 8652FF52 00FFFFFF
	s_mul_i32 s82, s82, s71                                    // 000000005ED0: 92524752
	s_mul_i32 s61, s60, s61                                    // 000000005ED4: 923D3D3C
	s_add_u32 s82, s82, s61                                    // 000000005ED8: 80523D52
	v_mul_lo_u32 v6, v5, s82                                   // 000000005EDC: D2850006 0000A505
	v_readlane_b32 s82, v3, 23                                 // 000000005EE4: D2890052 00012F03
	s_lshr_b32 s61, s82, 24                                    // 000000005EEC: 8F3D9852
	s_and_b32 s82, s82, 0xffffff                               // 000000005EF0: 8652FF52 00FFFFFF
	s_mul_i32 s82, s82, s71                                    // 000000005EF8: 92524752
	s_mul_i32 s61, s60, s61                                    // 000000005EFC: 923D3D3C
	s_add_u32 s82, s82, s61                                    // 000000005F00: 80523D52
	v_mul_lo_u32 v7, v4, s82                                   // 000000005F04: D2850007 0000A504
	v_add_u32_e32 v71, v6, v7                                  // 000000005F0C: 688E0F06
	v_readlane_b32 s82, v3, 24                                 // 000000005F10: D2890052 00013103
	s_lshr_b32 s61, s82, 24                                    // 000000005F18: 8F3D9852
	s_and_b32 s82, s82, 0xffffff                               // 000000005F1C: 8652FF52 00FFFFFF
	s_mul_i32 s82, s82, s71                                    // 000000005F24: 92524752
	s_mul_i32 s61, s60, s61                                    // 000000005F28: 923D3D3C
	s_add_u32 s82, s82, s61                                    // 000000005F2C: 80523D52
	v_mul_lo_u32 v6, v5, s82                                   // 000000005F30: D2850006 0000A505
	v_readlane_b32 s82, v3, 25                                 // 000000005F38: D2890052 00013303
	s_lshr_b32 s61, s82, 24                                    // 000000005F40: 8F3D9852
	s_and_b32 s82, s82, 0xffffff                               // 000000005F44: 8652FF52 00FFFFFF
	s_mul_i32 s82, s82, s71                                    // 000000005F4C: 92524752
	s_mul_i32 s61, s60, s61                                    // 000000005F50: 923D3D3C
	s_add_u32 s82, s82, s61                                    // 000000005F54: 80523D52
	v_mul_lo_u32 v7, v4, s82                                   // 000000005F58: D2850007 0000A504
	v_add_u32_e32 v72, v6, v7                                  // 000000005F60: 68900F06
	v_readlane_b32 s82, v3, 26                                 // 000000005F64: D2890052 00013503
	s_lshr_b32 s61, s82, 24                                    // 000000005F6C: 8F3D9852
	s_and_b32 s82, s82, 0xffffff                               // 000000005F70: 8652FF52 00FFFFFF
	s_mul_i32 s82, s82, s71                                    // 000000005F78: 92524752
	s_mul_i32 s61, s60, s61                                    // 000000005F7C: 923D3D3C
	s_add_u32 s82, s82, s61                                    // 000000005F80: 80523D52
	v_mul_lo_u32 v6, v5, s82                                   // 000000005F84: D2850006 0000A505
	v_readlane_b32 s82, v3, 27                                 // 000000005F8C: D2890052 00013703
	s_lshr_b32 s61, s82, 24                                    // 000000005F94: 8F3D9852
	s_and_b32 s82, s82, 0xffffff                               // 000000005F98: 8652FF52 00FFFFFF
	s_mul_i32 s82, s82, s71                                    // 000000005FA0: 92524752
	s_mul_i32 s61, s60, s61                                    // 000000005FA4: 923D3D3C
	s_add_u32 s82, s82, s61                                    // 000000005FA8: 80523D52
	v_mul_lo_u32 v7, v4, s82                                   // 000000005FAC: D2850007 0000A504
	v_add_u32_e32 v73, v6, v7                                  // 000000005FB4: 68920F06
	v_readlane_b32 s82, v3, 28                                 // 000000005FB8: D2890052 00013903
	s_lshr_b32 s61, s82, 24                                    // 000000005FC0: 8F3D9852
	s_and_b32 s82, s82, 0xffffff                               // 000000005FC4: 8652FF52 00FFFFFF
	s_mul_i32 s82, s82, s71                                    // 000000005FCC: 92524752
	s_mul_i32 s61, s60, s61                                    // 000000005FD0: 923D3D3C
	s_add_u32 s82, s82, s61                                    // 000000005FD4: 80523D52
	v_mul_lo_u32 v6, v5, s82                                   // 000000005FD8: D2850006 0000A505
	v_readlane_b32 s82, v3, 29                                 // 000000005FE0: D2890052 00013B03
	s_lshr_b32 s61, s82, 24                                    // 000000005FE8: 8F3D9852
	s_and_b32 s82, s82, 0xffffff                               // 000000005FEC: 8652FF52 00FFFFFF
	s_mul_i32 s82, s82, s71                                    // 000000005FF4: 92524752
	s_mul_i32 s61, s60, s61                                    // 000000005FF8: 923D3D3C
	s_add_u32 s82, s82, s61                                    // 000000005FFC: 80523D52
	v_mul_lo_u32 v7, v4, s82                                   // 000000006000: D2850007 0000A504
	v_add_u32_e32 v74, v6, v7                                  // 000000006008: 68940F06
	v_readlane_b32 s82, v3, 30                                 // 00000000600C: D2890052 00013D03
	s_lshr_b32 s61, s82, 24                                    // 000000006014: 8F3D9852
	s_and_b32 s82, s82, 0xffffff                               // 000000006018: 8652FF52 00FFFFFF
	s_mul_i32 s82, s82, s71                                    // 000000006020: 92524752
	s_mul_i32 s61, s60, s61                                    // 000000006024: 923D3D3C
	s_add_u32 s82, s82, s61                                    // 000000006028: 80523D52
	v_mul_lo_u32 v6, v5, s82                                   // 00000000602C: D2850006 0000A505
	v_readlane_b32 s82, v3, 31                                 // 000000006034: D2890052 00013F03
	s_lshr_b32 s61, s82, 24                                    // 00000000603C: 8F3D9852
	s_and_b32 s82, s82, 0xffffff                               // 000000006040: 8652FF52 00FFFFFF
	s_mul_i32 s82, s82, s71                                    // 000000006048: 92524752
	s_mul_i32 s61, s60, s61                                    // 00000000604C: 923D3D3C
	s_add_u32 s82, s82, s61                                    // 000000006050: 80523D52
	v_mul_lo_u32 v7, v4, s82                                   // 000000006054: D2850007 0000A504
	v_add_u32_e32 v75, v6, v7                                  // 00000000605C: 68960F06
	v_and_b32_e32 v4, 31, v0                                   // 000000006060: 2608009F
	v_lshrrev_b32_e32 v4, 1, v4                                // 000000006064: 20080881
	s_cmp_eq_u32 s88, 0                                        // 000000006068: BF068058
	s_cselect_b32 s61, 2, 4                                    // 00000000606C: 853D8482
	v_mul_lo_u32 v4, v4, s61                                   // 000000006070: D2850004 00007B04
	v_and_b32_e64 v5, v0, 1                                    // 000000006078: D1130005 00010300
	v_add_u32_e32 v4, v4, v5                                   // 000000006080: 68080B04
	v_lshlrev_b32_e32 v4, 2, v4                                // 000000006084: 24080882
	v_add_u32_e32 v60, v60, v4                                 // 000000006088: 6878093C
	v_add_u32_e32 v61, v61, v4                                 // 00000000608C: 687A093D
	v_add_u32_e32 v62, v62, v4                                 // 000000006090: 687C093E
	v_add_u32_e32 v63, v63, v4                                 // 000000006094: 687E093F
	v_add_u32_e32 v64, v64, v4                                 // 000000006098: 68800940
	v_add_u32_e32 v65, v65, v4                                 // 00000000609C: 68820941
	v_add_u32_e32 v66, v66, v4                                 // 0000000060A0: 68840942
	v_add_u32_e32 v67, v67, v4                                 // 0000000060A4: 68860943
	v_add_u32_e32 v68, v68, v4                                 // 0000000060A8: 68880944
	v_add_u32_e32 v69, v69, v4                                 // 0000000060AC: 688A0945
	v_add_u32_e32 v70, v70, v4                                 // 0000000060B0: 688C0946
	v_add_u32_e32 v71, v71, v4                                 // 0000000060B4: 688E0947
	v_add_u32_e32 v72, v72, v4                                 // 0000000060B8: 68900948
	v_add_u32_e32 v73, v73, v4                                 // 0000000060BC: 68920949
	v_add_u32_e32 v74, v74, v4                                 // 0000000060C0: 6894094A
	v_add_u32_e32 v75, v75, v4                                 // 0000000060C4: 6896094B
	s_waitcnt lgkmcnt(0)                                       // 0000000060C8: BF8CC07F
	s_barrier                                                  // 0000000060CC: BF8A0000
	ds_read_b32 v80, v21                                       // 0000000060D0: D86C0000 50000015
	ds_read_b32 v81, v21 offset:64                             // 0000000060D8: D86C0040 51000015
	ds_read_b32 v84, v21 offset:2176                           // 0000000060E0: D86C0880 54000015
	ds_read_b32 v85, v21 offset:2240                           // 0000000060E8: D86C08C0 55000015
	ds_read_b32 v88, v21 offset:4352                           // 0000000060F0: D86C1100 58000015
	ds_read_b32 v89, v21 offset:4416                           // 0000000060F8: D86C1140 59000015
	ds_read_b32 v92, v21 offset:6528                           // 000000006100: D86C1980 5C000015
	ds_read_b32 v93, v21 offset:6592                           // 000000006108: D86C19C0 5D000015
	ds_read_b32 v96, v21 offset:8704                           // 000000006110: D86C2200 60000015
	ds_read_b32 v97, v21 offset:8768                           // 000000006118: D86C2240 61000015
	ds_read_b32 v100, v21 offset:10880                         // 000000006120: D86C2A80 64000015
	ds_read_b32 v101, v21 offset:10944                         // 000000006128: D86C2AC0 65000015
	ds_read_b32 v104, v21 offset:13056                         // 000000006130: D86C3300 68000015
	ds_read_b32 v105, v21 offset:13120                         // 000000006138: D86C3340 69000015
	ds_read_b32 v108, v21 offset:15232                         // 000000006140: D86C3B80 6C000015
	ds_read_b32 v109, v21 offset:15296                         // 000000006148: D86C3BC0 6D000015
	s_waitcnt lgkmcnt(0)                                       // 000000006150: BF8CC07F
	s_mov_b32 s36, -1                                          // 000000006154: BEA400C1
	s_mov_b32 s37, -1                                          // 000000006158: BEA500C1
	v_mov_b32_e32 v7, 0                                        // 00000000615C: 7E0E0280
	s_mov_b64 exec, s[36:37]                                   // 000000006160: BEFE0124
	v_mov_b32_e32 v6, v60                                      // 000000006164: 7E0C033C
	s_mov_b64 s[60:61], 0                                      // 000000006168: BEBC0180
	v_readlane_b32 s82, v3, 0                                  // 00000000616C: D2890052 00010103
	s_and_b32 s82, s82, 0xffffff                               // 000000006174: 8652FF52 00FFFFFF
	s_cmp_lt_u32 s82, s66                                      // 00000000617C: BF0A4252
	s_cselect_b32 s20, s36, s60                                // 000000006180: 85143C24
	v_readlane_b32 s82, v3, 1                                  // 000000006184: D2890052 00010303
	s_and_b32 s82, s82, 0xffffff                               // 00000000618C: 8652FF52 00FFFFFF
	s_cmp_lt_u32 s82, s66                                      // 000000006194: BF0A4252
	s_cselect_b32 s21, s36, s60                                // 000000006198: 85153C24
	s_mov_b64 exec, s[20:21]                                   // 00000000619C: BEFE0114
	global_atomic_add_f32 v6, v80, s[8:9]                      // 0000000061A0: DD348000 00085006
	s_mov_b64 exec, s[36:37]                                   // 0000000061A8: BEFE0124
	v_mov_b32_e32 v6, v61                                      // 0000000061AC: 7E0C033D
	s_mov_b64 s[60:61], 0                                      // 0000000061B0: BEBC0180
	v_readlane_b32 s82, v3, 2                                  // 0000000061B4: D2890052 00010503
	s_and_b32 s82, s82, 0xffffff                               // 0000000061BC: 8652FF52 00FFFFFF
	s_cmp_lt_u32 s82, s66                                      // 0000000061C4: BF0A4252
	s_cselect_b32 s20, s36, s60                                // 0000000061C8: 85143C24
	v_readlane_b32 s82, v3, 3                                  // 0000000061CC: D2890052 00010703
	s_and_b32 s82, s82, 0xffffff                               // 0000000061D4: 8652FF52 00FFFFFF
	s_cmp_lt_u32 s82, s66                                      // 0000000061DC: BF0A4252
	s_cselect_b32 s21, s36, s60                                // 0000000061E0: 85153C24
	s_mov_b64 exec, s[20:21]                                   // 0000000061E4: BEFE0114
	global_atomic_add_f32 v6, v81, s[8:9]                      // 0000000061E8: DD348000 00085106
	s_mov_b64 exec, s[36:37]                                   // 0000000061F0: BEFE0124
	v_mov_b32_e32 v6, v62                                      // 0000000061F4: 7E0C033E
	s_mov_b64 s[60:61], 0                                      // 0000000061F8: BEBC0180
	v_readlane_b32 s82, v3, 4                                  // 0000000061FC: D2890052 00010903
	s_and_b32 s82, s82, 0xffffff                               // 000000006204: 8652FF52 00FFFFFF
	s_cmp_lt_u32 s82, s66                                      // 00000000620C: BF0A4252
	s_cselect_b32 s20, s36, s60                                // 000000006210: 85143C24
	v_readlane_b32 s82, v3, 5                                  // 000000006214: D2890052 00010B03
	s_and_b32 s82, s82, 0xffffff                               // 00000000621C: 8652FF52 00FFFFFF
	s_cmp_lt_u32 s82, s66                                      // 000000006224: BF0A4252
	s_cselect_b32 s21, s36, s60                                // 000000006228: 85153C24
	s_mov_b64 exec, s[20:21]                                   // 00000000622C: BEFE0114
	global_atomic_add_f32 v6, v84, s[8:9]                      // 000000006230: DD348000 00085406
	s_mov_b64 exec, s[36:37]                                   // 000000006238: BEFE0124
	v_mov_b32_e32 v6, v63                                      // 00000000623C: 7E0C033F
	s_mov_b64 s[60:61], 0                                      // 000000006240: BEBC0180
	v_readlane_b32 s82, v3, 6                                  // 000000006244: D2890052 00010D03
	s_and_b32 s82, s82, 0xffffff                               // 00000000624C: 8652FF52 00FFFFFF
	s_cmp_lt_u32 s82, s66                                      // 000000006254: BF0A4252
	s_cselect_b32 s20, s36, s60                                // 000000006258: 85143C24
	v_readlane_b32 s82, v3, 7                                  // 00000000625C: D2890052 00010F03
	s_and_b32 s82, s82, 0xffffff                               // 000000006264: 8652FF52 00FFFFFF
	s_cmp_lt_u32 s82, s66                                      // 00000000626C: BF0A4252
	s_cselect_b32 s21, s36, s60                                // 000000006270: 85153C24
	s_mov_b64 exec, s[20:21]                                   // 000000006274: BEFE0114
	global_atomic_add_f32 v6, v85, s[8:9]                      // 000000006278: DD348000 00085506
	s_mov_b64 exec, s[36:37]                                   // 000000006280: BEFE0124
	v_mov_b32_e32 v6, v64                                      // 000000006284: 7E0C0340
	s_mov_b64 s[60:61], 0                                      // 000000006288: BEBC0180
	v_readlane_b32 s82, v3, 8                                  // 00000000628C: D2890052 00011103
	s_and_b32 s82, s82, 0xffffff                               // 000000006294: 8652FF52 00FFFFFF
	s_cmp_lt_u32 s82, s66                                      // 00000000629C: BF0A4252
	s_cselect_b32 s20, s36, s60                                // 0000000062A0: 85143C24
	v_readlane_b32 s82, v3, 9                                  // 0000000062A4: D2890052 00011303
	s_and_b32 s82, s82, 0xffffff                               // 0000000062AC: 8652FF52 00FFFFFF
	s_cmp_lt_u32 s82, s66                                      // 0000000062B4: BF0A4252
	s_cselect_b32 s21, s36, s60                                // 0000000062B8: 85153C24
	s_mov_b64 exec, s[20:21]                                   // 0000000062BC: BEFE0114
	global_atomic_add_f32 v6, v88, s[8:9]                      // 0000000062C0: DD348000 00085806
	s_mov_b64 exec, s[36:37]                                   // 0000000062C8: BEFE0124
	v_mov_b32_e32 v6, v65                                      // 0000000062CC: 7E0C0341
	s_mov_b64 s[60:61], 0                                      // 0000000062D0: BEBC0180
	v_readlane_b32 s82, v3, 10                                 // 0000000062D4: D2890052 00011503
	s_and_b32 s82, s82, 0xffffff                               // 0000000062DC: 8652FF52 00FFFFFF
	s_cmp_lt_u32 s82, s66                                      // 0000000062E4: BF0A4252
	s_cselect_b32 s20, s36, s60                                // 0000000062E8: 85143C24
	v_readlane_b32 s82, v3, 11                                 // 0000000062EC: D2890052 00011703
	s_and_b32 s82, s82, 0xffffff                               // 0000000062F4: 8652FF52 00FFFFFF
	s_cmp_lt_u32 s82, s66                                      // 0000000062FC: BF0A4252
	s_cselect_b32 s21, s36, s60                                // 000000006300: 85153C24
	s_mov_b64 exec, s[20:21]                                   // 000000006304: BEFE0114
	global_atomic_add_f32 v6, v89, s[8:9]                      // 000000006308: DD348000 00085906
	s_mov_b64 exec, s[36:37]                                   // 000000006310: BEFE0124
	v_mov_b32_e32 v6, v66                                      // 000000006314: 7E0C0342
	s_mov_b64 s[60:61], 0                                      // 000000006318: BEBC0180
	v_readlane_b32 s82, v3, 12                                 // 00000000631C: D2890052 00011903
	s_and_b32 s82, s82, 0xffffff                               // 000000006324: 8652FF52 00FFFFFF
	s_cmp_lt_u32 s82, s66                                      // 00000000632C: BF0A4252
	s_cselect_b32 s20, s36, s60                                // 000000006330: 85143C24
	v_readlane_b32 s82, v3, 13                                 // 000000006334: D2890052 00011B03
	s_and_b32 s82, s82, 0xffffff                               // 00000000633C: 8652FF52 00FFFFFF
	s_cmp_lt_u32 s82, s66                                      // 000000006344: BF0A4252
	s_cselect_b32 s21, s36, s60                                // 000000006348: 85153C24
	s_mov_b64 exec, s[20:21]                                   // 00000000634C: BEFE0114
	global_atomic_add_f32 v6, v92, s[8:9]                      // 000000006350: DD348000 00085C06
	s_mov_b64 exec, s[36:37]                                   // 000000006358: BEFE0124
	v_mov_b32_e32 v6, v67                                      // 00000000635C: 7E0C0343
	s_mov_b64 s[60:61], 0                                      // 000000006360: BEBC0180
	v_readlane_b32 s82, v3, 14                                 // 000000006364: D2890052 00011D03
	s_and_b32 s82, s82, 0xffffff                               // 00000000636C: 8652FF52 00FFFFFF
	s_cmp_lt_u32 s82, s66                                      // 000000006374: BF0A4252
	s_cselect_b32 s20, s36, s60                                // 000000006378: 85143C24
	v_readlane_b32 s82, v3, 15                                 // 00000000637C: D2890052 00011F03
	s_and_b32 s82, s82, 0xffffff                               // 000000006384: 8652FF52 00FFFFFF
	s_cmp_lt_u32 s82, s66                                      // 00000000638C: BF0A4252
	s_cselect_b32 s21, s36, s60                                // 000000006390: 85153C24
	s_mov_b64 exec, s[20:21]                                   // 000000006394: BEFE0114
	global_atomic_add_f32 v6, v93, s[8:9]                      // 000000006398: DD348000 00085D06
	s_mov_b64 exec, s[36:37]                                   // 0000000063A0: BEFE0124
	v_mov_b32_e32 v6, v68                                      // 0000000063A4: 7E0C0344
	s_mov_b64 s[60:61], 0                                      // 0000000063A8: BEBC0180
	v_readlane_b32 s82, v3, 16                                 // 0000000063AC: D2890052 00012103
	s_and_b32 s82, s82, 0xffffff                               // 0000000063B4: 8652FF52 00FFFFFF
	s_cmp_lt_u32 s82, s66                                      // 0000000063BC: BF0A4252
	s_cselect_b32 s20, s36, s60                                // 0000000063C0: 85143C24
	v_readlane_b32 s82, v3, 17                                 // 0000000063C4: D2890052 00012303
	s_and_b32 s82, s82, 0xffffff                               // 0000000063CC: 8652FF52 00FFFFFF
	s_cmp_lt_u32 s82, s66                                      // 0000000063D4: BF0A4252
	s_cselect_b32 s21, s36, s60                                // 0000000063D8: 85153C24
	s_mov_b64 exec, s[20:21]                                   // 0000000063DC: BEFE0114
	global_atomic_add_f32 v6, v96, s[8:9]                      // 0000000063E0: DD348000 00086006
	s_mov_b64 exec, s[36:37]                                   // 0000000063E8: BEFE0124
	v_mov_b32_e32 v6, v69                                      // 0000000063EC: 7E0C0345
	s_mov_b64 s[60:61], 0                                      // 0000000063F0: BEBC0180
	v_readlane_b32 s82, v3, 18                                 // 0000000063F4: D2890052 00012503
	s_and_b32 s82, s82, 0xffffff                               // 0000000063FC: 8652FF52 00FFFFFF
	s_cmp_lt_u32 s82, s66                                      // 000000006404: BF0A4252
	s_cselect_b32 s20, s36, s60                                // 000000006408: 85143C24
	v_readlane_b32 s82, v3, 19                                 // 00000000640C: D2890052 00012703
	s_and_b32 s82, s82, 0xffffff                               // 000000006414: 8652FF52 00FFFFFF
	s_cmp_lt_u32 s82, s66                                      // 00000000641C: BF0A4252
	s_cselect_b32 s21, s36, s60                                // 000000006420: 85153C24
	s_mov_b64 exec, s[20:21]                                   // 000000006424: BEFE0114
	global_atomic_add_f32 v6, v97, s[8:9]                      // 000000006428: DD348000 00086106
	s_mov_b64 exec, s[36:37]                                   // 000000006430: BEFE0124
	v_mov_b32_e32 v6, v70                                      // 000000006434: 7E0C0346
	s_mov_b64 s[60:61], 0                                      // 000000006438: BEBC0180
	v_readlane_b32 s82, v3, 20                                 // 00000000643C: D2890052 00012903
	s_and_b32 s82, s82, 0xffffff                               // 000000006444: 8652FF52 00FFFFFF
	s_cmp_lt_u32 s82, s66                                      // 00000000644C: BF0A4252
	s_cselect_b32 s20, s36, s60                                // 000000006450: 85143C24
	v_readlane_b32 s82, v3, 21                                 // 000000006454: D2890052 00012B03
	s_and_b32 s82, s82, 0xffffff                               // 00000000645C: 8652FF52 00FFFFFF
	s_cmp_lt_u32 s82, s66                                      // 000000006464: BF0A4252
	s_cselect_b32 s21, s36, s60                                // 000000006468: 85153C24
	s_mov_b64 exec, s[20:21]                                   // 00000000646C: BEFE0114
	global_atomic_add_f32 v6, v100, s[8:9]                     // 000000006470: DD348000 00086406
	s_mov_b64 exec, s[36:37]                                   // 000000006478: BEFE0124
	v_mov_b32_e32 v6, v71                                      // 00000000647C: 7E0C0347
	s_mov_b64 s[60:61], 0                                      // 000000006480: BEBC0180
	v_readlane_b32 s82, v3, 22                                 // 000000006484: D2890052 00012D03
	s_and_b32 s82, s82, 0xffffff                               // 00000000648C: 8652FF52 00FFFFFF
	s_cmp_lt_u32 s82, s66                                      // 000000006494: BF0A4252
	s_cselect_b32 s20, s36, s60                                // 000000006498: 85143C24
	v_readlane_b32 s82, v3, 23                                 // 00000000649C: D2890052 00012F03
	s_and_b32 s82, s82, 0xffffff                               // 0000000064A4: 8652FF52 00FFFFFF
	s_cmp_lt_u32 s82, s66                                      // 0000000064AC: BF0A4252
	s_cselect_b32 s21, s36, s60                                // 0000000064B0: 85153C24
	s_mov_b64 exec, s[20:21]                                   // 0000000064B4: BEFE0114
	global_atomic_add_f32 v6, v101, s[8:9]                     // 0000000064B8: DD348000 00086506
	s_mov_b64 exec, s[36:37]                                   // 0000000064C0: BEFE0124
	v_mov_b32_e32 v6, v72                                      // 0000000064C4: 7E0C0348
	s_mov_b64 s[60:61], 0                                      // 0000000064C8: BEBC0180
	v_readlane_b32 s82, v3, 24                                 // 0000000064CC: D2890052 00013103
	s_and_b32 s82, s82, 0xffffff                               // 0000000064D4: 8652FF52 00FFFFFF
	s_cmp_lt_u32 s82, s66                                      // 0000000064DC: BF0A4252
	s_cselect_b32 s20, s36, s60                                // 0000000064E0: 85143C24
	v_readlane_b32 s82, v3, 25                                 // 0000000064E4: D2890052 00013303
	s_and_b32 s82, s82, 0xffffff                               // 0000000064EC: 8652FF52 00FFFFFF
	s_cmp_lt_u32 s82, s66                                      // 0000000064F4: BF0A4252
	s_cselect_b32 s21, s36, s60                                // 0000000064F8: 85153C24
	s_mov_b64 exec, s[20:21]                                   // 0000000064FC: BEFE0114
	global_atomic_add_f32 v6, v104, s[8:9]                     // 000000006500: DD348000 00086806
	s_mov_b64 exec, s[36:37]                                   // 000000006508: BEFE0124
	v_mov_b32_e32 v6, v73                                      // 00000000650C: 7E0C0349
	s_mov_b64 s[60:61], 0                                      // 000000006510: BEBC0180
	v_readlane_b32 s82, v3, 26                                 // 000000006514: D2890052 00013503
	s_and_b32 s82, s82, 0xffffff                               // 00000000651C: 8652FF52 00FFFFFF
	s_cmp_lt_u32 s82, s66                                      // 000000006524: BF0A4252
	s_cselect_b32 s20, s36, s60                                // 000000006528: 85143C24
	v_readlane_b32 s82, v3, 27                                 // 00000000652C: D2890052 00013703
	s_and_b32 s82, s82, 0xffffff                               // 000000006534: 8652FF52 00FFFFFF
	s_cmp_lt_u32 s82, s66                                      // 00000000653C: BF0A4252
	s_cselect_b32 s21, s36, s60                                // 000000006540: 85153C24
	s_mov_b64 exec, s[20:21]                                   // 000000006544: BEFE0114
	global_atomic_add_f32 v6, v105, s[8:9]                     // 000000006548: DD348000 00086906
	s_mov_b64 exec, s[36:37]                                   // 000000006550: BEFE0124
	v_mov_b32_e32 v6, v74                                      // 000000006554: 7E0C034A
	s_mov_b64 s[60:61], 0                                      // 000000006558: BEBC0180
	v_readlane_b32 s82, v3, 28                                 // 00000000655C: D2890052 00013903
	s_and_b32 s82, s82, 0xffffff                               // 000000006564: 8652FF52 00FFFFFF
	s_cmp_lt_u32 s82, s66                                      // 00000000656C: BF0A4252
	s_cselect_b32 s20, s36, s60                                // 000000006570: 85143C24
	v_readlane_b32 s82, v3, 29                                 // 000000006574: D2890052 00013B03
	s_and_b32 s82, s82, 0xffffff                               // 00000000657C: 8652FF52 00FFFFFF
	s_cmp_lt_u32 s82, s66                                      // 000000006584: BF0A4252
	s_cselect_b32 s21, s36, s60                                // 000000006588: 85153C24
	s_mov_b64 exec, s[20:21]                                   // 00000000658C: BEFE0114
	global_atomic_add_f32 v6, v108, s[8:9]                     // 000000006590: DD348000 00086C06
	s_mov_b64 exec, s[36:37]                                   // 000000006598: BEFE0124
	v_mov_b32_e32 v6, v75                                      // 00000000659C: 7E0C034B
	s_mov_b64 s[60:61], 0                                      // 0000000065A0: BEBC0180
	v_readlane_b32 s82, v3, 30                                 // 0000000065A4: D2890052 00013D03
	s_and_b32 s82, s82, 0xffffff                               // 0000000065AC: 8652FF52 00FFFFFF
	s_cmp_lt_u32 s82, s66                                      // 0000000065B4: BF0A4252
	s_cselect_b32 s20, s36, s60                                // 0000000065B8: 85143C24
	v_readlane_b32 s82, v3, 31                                 // 0000000065BC: D2890052 00013F03
	s_and_b32 s82, s82, 0xffffff                               // 0000000065C4: 8652FF52 00FFFFFF
	s_cmp_lt_u32 s82, s66                                      // 0000000065CC: BF0A4252
	s_cselect_b32 s21, s36, s60                                // 0000000065D0: 85153C24
	s_mov_b64 exec, s[20:21]                                   // 0000000065D4: BEFE0114
	global_atomic_add_f32 v6, v109, s[8:9]                     // 0000000065D8: DD348000 00086D06
	s_mov_b64 exec, s[36:37]                                   // 0000000065E0: BEFE0124
	ds_write_b64 v20, v[82:83]                                 // 0000000065E4: D89A0000 00005214
	ds_write_b64 v20, v[86:87] offset:2176                     // 0000000065EC: D89A0880 00005614
	ds_write_b64 v20, v[90:91] offset:4352                     // 0000000065F4: D89A1100 00005A14
	ds_write_b64 v20, v[94:95] offset:6528                     // 0000000065FC: D89A1980 00005E14
	ds_write_b64 v20, v[98:99] offset:8704                     // 000000006604: D89A2200 00006214
	ds_write_b64 v20, v[102:103] offset:10880                  // 00000000660C: D89A2A80 00006614
	ds_write_b64 v20, v[106:107] offset:13056                  // 000000006614: D89A3300 00006A14
	ds_write_b64 v20, v[110:111] offset:15232                  // 00000000661C: D89A3B80 00006E14
	s_waitcnt lgkmcnt(0)                                       // 000000006624: BF8CC07F
	s_barrier                                                  // 000000006628: BF8A0000
	ds_read_b32 v82, v21                                       // 00000000662C: D86C0000 52000015
	ds_read_b32 v83, v21 offset:64                             // 000000006634: D86C0040 53000015
	ds_read_b32 v86, v21 offset:2176                           // 00000000663C: D86C0880 56000015
	ds_read_b32 v87, v21 offset:2240                           // 000000006644: D86C08C0 57000015
	ds_read_b32 v90, v21 offset:4352                           // 00000000664C: D86C1100 5A000015
	ds_read_b32 v91, v21 offset:4416                           // 000000006654: D86C1140 5B000015
	ds_read_b32 v94, v21 offset:6528                           // 00000000665C: D86C1980 5E000015
	ds_read_b32 v95, v21 offset:6592                           // 000000006664: D86C19C0 5F000015
	ds_read_b32 v98, v21 offset:8704                           // 00000000666C: D86C2200 62000015
	ds_read_b32 v99, v21 offset:8768                           // 000000006674: D86C2240 63000015
	ds_read_b32 v102, v21 offset:10880                         // 00000000667C: D86C2A80 66000015
	ds_read_b32 v103, v21 offset:10944                         // 000000006684: D86C2AC0 67000015
	ds_read_b32 v106, v21 offset:13056                         // 00000000668C: D86C3300 6A000015
	ds_read_b32 v107, v21 offset:13120                         // 000000006694: D86C3340 6B000015
	ds_read_b32 v110, v21 offset:15232                         // 00000000669C: D86C3B80 6E000015
	ds_read_b32 v111, v21 offset:15296                         // 0000000066A4: D86C3BC0 6F000015
	s_waitcnt lgkmcnt(0)                                       // 0000000066AC: BF8CC07F
	v_mov_b32_e32 v7, 0                                        // 0000000066B0: 7E0E0280
	s_mov_b64 exec, s[36:37]                                   // 0000000066B4: BEFE0124
	v_mov_b32_e32 v6, v60                                      // 0000000066B8: 7E0C033C
	s_mov_b64 s[60:61], 0                                      // 0000000066BC: BEBC0180
	v_readlane_b32 s82, v3, 0                                  // 0000000066C0: D2890052 00010103
	s_and_b32 s82, s82, 0xffffff                               // 0000000066C8: 8652FF52 00FFFFFF
	s_cmp_lt_u32 s82, s66                                      // 0000000066D0: BF0A4252
	s_cselect_b32 s20, s36, s60                                // 0000000066D4: 85143C24
	v_readlane_b32 s82, v3, 1                                  // 0000000066D8: D2890052 00010303
	s_and_b32 s82, s82, 0xffffff                               // 0000000066E0: 8652FF52 00FFFFFF
	s_cmp_lt_u32 s82, s66                                      // 0000000066E8: BF0A4252
	s_cselect_b32 s21, s36, s60                                // 0000000066EC: 85153C24
	s_mov_b64 exec, s[20:21]                                   // 0000000066F0: BEFE0114
	global_atomic_add_f32 v6, v82, s[8:9] offset:8             // 0000000066F4: DD348008 00085206
	s_mov_b64 exec, s[36:37]                                   // 0000000066FC: BEFE0124
	v_mov_b32_e32 v6, v61                                      // 000000006700: 7E0C033D
	s_mov_b64 s[60:61], 0                                      // 000000006704: BEBC0180
	v_readlane_b32 s82, v3, 2                                  // 000000006708: D2890052 00010503
	s_and_b32 s82, s82, 0xffffff                               // 000000006710: 8652FF52 00FFFFFF
	s_cmp_lt_u32 s82, s66                                      // 000000006718: BF0A4252
	s_cselect_b32 s20, s36, s60                                // 00000000671C: 85143C24
	v_readlane_b32 s82, v3, 3                                  // 000000006720: D2890052 00010703
	s_and_b32 s82, s82, 0xffffff                               // 000000006728: 8652FF52 00FFFFFF
	s_cmp_lt_u32 s82, s66                                      // 000000006730: BF0A4252
	s_cselect_b32 s21, s36, s60                                // 000000006734: 85153C24
	s_mov_b64 exec, s[20:21]                                   // 000000006738: BEFE0114
	global_atomic_add_f32 v6, v83, s[8:9] offset:8             // 00000000673C: DD348008 00085306
	s_mov_b64 exec, s[36:37]                                   // 000000006744: BEFE0124
	v_mov_b32_e32 v6, v62                                      // 000000006748: 7E0C033E
	s_mov_b64 s[60:61], 0                                      // 00000000674C: BEBC0180
	v_readlane_b32 s82, v3, 4                                  // 000000006750: D2890052 00010903
	s_and_b32 s82, s82, 0xffffff                               // 000000006758: 8652FF52 00FFFFFF
	s_cmp_lt_u32 s82, s66                                      // 000000006760: BF0A4252
	s_cselect_b32 s20, s36, s60                                // 000000006764: 85143C24
	v_readlane_b32 s82, v3, 5                                  // 000000006768: D2890052 00010B03
	s_and_b32 s82, s82, 0xffffff                               // 000000006770: 8652FF52 00FFFFFF
	s_cmp_lt_u32 s82, s66                                      // 000000006778: BF0A4252
	s_cselect_b32 s21, s36, s60                                // 00000000677C: 85153C24
	s_mov_b64 exec, s[20:21]                                   // 000000006780: BEFE0114
	global_atomic_add_f32 v6, v86, s[8:9] offset:8             // 000000006784: DD348008 00085606
	s_mov_b64 exec, s[36:37]                                   // 00000000678C: BEFE0124
	v_mov_b32_e32 v6, v63                                      // 000000006790: 7E0C033F
	s_mov_b64 s[60:61], 0                                      // 000000006794: BEBC0180
	v_readlane_b32 s82, v3, 6                                  // 000000006798: D2890052 00010D03
	s_and_b32 s82, s82, 0xffffff                               // 0000000067A0: 8652FF52 00FFFFFF
	s_cmp_lt_u32 s82, s66                                      // 0000000067A8: BF0A4252
	s_cselect_b32 s20, s36, s60                                // 0000000067AC: 85143C24
	v_readlane_b32 s82, v3, 7                                  // 0000000067B0: D2890052 00010F03
	s_and_b32 s82, s82, 0xffffff                               // 0000000067B8: 8652FF52 00FFFFFF
	s_cmp_lt_u32 s82, s66                                      // 0000000067C0: BF0A4252
	s_cselect_b32 s21, s36, s60                                // 0000000067C4: 85153C24
	s_mov_b64 exec, s[20:21]                                   // 0000000067C8: BEFE0114
	global_atomic_add_f32 v6, v87, s[8:9] offset:8             // 0000000067CC: DD348008 00085706
	s_mov_b64 exec, s[36:37]                                   // 0000000067D4: BEFE0124
	v_mov_b32_e32 v6, v64                                      // 0000000067D8: 7E0C0340
	s_mov_b64 s[60:61], 0                                      // 0000000067DC: BEBC0180
	v_readlane_b32 s82, v3, 8                                  // 0000000067E0: D2890052 00011103
	s_and_b32 s82, s82, 0xffffff                               // 0000000067E8: 8652FF52 00FFFFFF
	s_cmp_lt_u32 s82, s66                                      // 0000000067F0: BF0A4252
	s_cselect_b32 s20, s36, s60                                // 0000000067F4: 85143C24
	v_readlane_b32 s82, v3, 9                                  // 0000000067F8: D2890052 00011303
	s_and_b32 s82, s82, 0xffffff                               // 000000006800: 8652FF52 00FFFFFF
	s_cmp_lt_u32 s82, s66                                      // 000000006808: BF0A4252
	s_cselect_b32 s21, s36, s60                                // 00000000680C: 85153C24
	s_mov_b64 exec, s[20:21]                                   // 000000006810: BEFE0114
	global_atomic_add_f32 v6, v90, s[8:9] offset:8             // 000000006814: DD348008 00085A06
	s_mov_b64 exec, s[36:37]                                   // 00000000681C: BEFE0124
	v_mov_b32_e32 v6, v65                                      // 000000006820: 7E0C0341
	s_mov_b64 s[60:61], 0                                      // 000000006824: BEBC0180
	v_readlane_b32 s82, v3, 10                                 // 000000006828: D2890052 00011503
	s_and_b32 s82, s82, 0xffffff                               // 000000006830: 8652FF52 00FFFFFF
	s_cmp_lt_u32 s82, s66                                      // 000000006838: BF0A4252
	s_cselect_b32 s20, s36, s60                                // 00000000683C: 85143C24
	v_readlane_b32 s82, v3, 11                                 // 000000006840: D2890052 00011703
	s_and_b32 s82, s82, 0xffffff                               // 000000006848: 8652FF52 00FFFFFF
	s_cmp_lt_u32 s82, s66                                      // 000000006850: BF0A4252
	s_cselect_b32 s21, s36, s60                                // 000000006854: 85153C24
	s_mov_b64 exec, s[20:21]                                   // 000000006858: BEFE0114
	global_atomic_add_f32 v6, v91, s[8:9] offset:8             // 00000000685C: DD348008 00085B06
	s_mov_b64 exec, s[36:37]                                   // 000000006864: BEFE0124
	v_mov_b32_e32 v6, v66                                      // 000000006868: 7E0C0342
	s_mov_b64 s[60:61], 0                                      // 00000000686C: BEBC0180
	v_readlane_b32 s82, v3, 12                                 // 000000006870: D2890052 00011903
	s_and_b32 s82, s82, 0xffffff                               // 000000006878: 8652FF52 00FFFFFF
	s_cmp_lt_u32 s82, s66                                      // 000000006880: BF0A4252
	s_cselect_b32 s20, s36, s60                                // 000000006884: 85143C24
	v_readlane_b32 s82, v3, 13                                 // 000000006888: D2890052 00011B03
	s_and_b32 s82, s82, 0xffffff                               // 000000006890: 8652FF52 00FFFFFF
	s_cmp_lt_u32 s82, s66                                      // 000000006898: BF0A4252
	s_cselect_b32 s21, s36, s60                                // 00000000689C: 85153C24
	s_mov_b64 exec, s[20:21]                                   // 0000000068A0: BEFE0114
	global_atomic_add_f32 v6, v94, s[8:9] offset:8             // 0000000068A4: DD348008 00085E06
	s_mov_b64 exec, s[36:37]                                   // 0000000068AC: BEFE0124
	v_mov_b32_e32 v6, v67                                      // 0000000068B0: 7E0C0343
	s_mov_b64 s[60:61], 0                                      // 0000000068B4: BEBC0180
	v_readlane_b32 s82, v3, 14                                 // 0000000068B8: D2890052 00011D03
	s_and_b32 s82, s82, 0xffffff                               // 0000000068C0: 8652FF52 00FFFFFF
	s_cmp_lt_u32 s82, s66                                      // 0000000068C8: BF0A4252
	s_cselect_b32 s20, s36, s60                                // 0000000068CC: 85143C24
	v_readlane_b32 s82, v3, 15                                 // 0000000068D0: D2890052 00011F03
	s_and_b32 s82, s82, 0xffffff                               // 0000000068D8: 8652FF52 00FFFFFF
	s_cmp_lt_u32 s82, s66                                      // 0000000068E0: BF0A4252
	s_cselect_b32 s21, s36, s60                                // 0000000068E4: 85153C24
	s_mov_b64 exec, s[20:21]                                   // 0000000068E8: BEFE0114
	global_atomic_add_f32 v6, v95, s[8:9] offset:8             // 0000000068EC: DD348008 00085F06
	s_mov_b64 exec, s[36:37]                                   // 0000000068F4: BEFE0124
	v_mov_b32_e32 v6, v68                                      // 0000000068F8: 7E0C0344
	s_mov_b64 s[60:61], 0                                      // 0000000068FC: BEBC0180
	v_readlane_b32 s82, v3, 16                                 // 000000006900: D2890052 00012103
	s_and_b32 s82, s82, 0xffffff                               // 000000006908: 8652FF52 00FFFFFF
	s_cmp_lt_u32 s82, s66                                      // 000000006910: BF0A4252
	s_cselect_b32 s20, s36, s60                                // 000000006914: 85143C24
	v_readlane_b32 s82, v3, 17                                 // 000000006918: D2890052 00012303
	s_and_b32 s82, s82, 0xffffff                               // 000000006920: 8652FF52 00FFFFFF
	s_cmp_lt_u32 s82, s66                                      // 000000006928: BF0A4252
	s_cselect_b32 s21, s36, s60                                // 00000000692C: 85153C24
	s_mov_b64 exec, s[20:21]                                   // 000000006930: BEFE0114
	global_atomic_add_f32 v6, v98, s[8:9] offset:8             // 000000006934: DD348008 00086206
	s_mov_b64 exec, s[36:37]                                   // 00000000693C: BEFE0124
	v_mov_b32_e32 v6, v69                                      // 000000006940: 7E0C0345
	s_mov_b64 s[60:61], 0                                      // 000000006944: BEBC0180
	v_readlane_b32 s82, v3, 18                                 // 000000006948: D2890052 00012503
	s_and_b32 s82, s82, 0xffffff                               // 000000006950: 8652FF52 00FFFFFF
	s_cmp_lt_u32 s82, s66                                      // 000000006958: BF0A4252
	s_cselect_b32 s20, s36, s60                                // 00000000695C: 85143C24
	v_readlane_b32 s82, v3, 19                                 // 000000006960: D2890052 00012703
	s_and_b32 s82, s82, 0xffffff                               // 000000006968: 8652FF52 00FFFFFF
	s_cmp_lt_u32 s82, s66                                      // 000000006970: BF0A4252
	s_cselect_b32 s21, s36, s60                                // 000000006974: 85153C24
	s_mov_b64 exec, s[20:21]                                   // 000000006978: BEFE0114
	global_atomic_add_f32 v6, v99, s[8:9] offset:8             // 00000000697C: DD348008 00086306
	s_mov_b64 exec, s[36:37]                                   // 000000006984: BEFE0124
	v_mov_b32_e32 v6, v70                                      // 000000006988: 7E0C0346
	s_mov_b64 s[60:61], 0                                      // 00000000698C: BEBC0180
	v_readlane_b32 s82, v3, 20                                 // 000000006990: D2890052 00012903
	s_and_b32 s82, s82, 0xffffff                               // 000000006998: 8652FF52 00FFFFFF
	s_cmp_lt_u32 s82, s66                                      // 0000000069A0: BF0A4252
	s_cselect_b32 s20, s36, s60                                // 0000000069A4: 85143C24
	v_readlane_b32 s82, v3, 21                                 // 0000000069A8: D2890052 00012B03
	s_and_b32 s82, s82, 0xffffff                               // 0000000069B0: 8652FF52 00FFFFFF
	s_cmp_lt_u32 s82, s66                                      // 0000000069B8: BF0A4252
	s_cselect_b32 s21, s36, s60                                // 0000000069BC: 85153C24
	s_mov_b64 exec, s[20:21]                                   // 0000000069C0: BEFE0114
	global_atomic_add_f32 v6, v102, s[8:9] offset:8            // 0000000069C4: DD348008 00086606
	s_mov_b64 exec, s[36:37]                                   // 0000000069CC: BEFE0124
	v_mov_b32_e32 v6, v71                                      // 0000000069D0: 7E0C0347
	s_mov_b64 s[60:61], 0                                      // 0000000069D4: BEBC0180
	v_readlane_b32 s82, v3, 22                                 // 0000000069D8: D2890052 00012D03
	s_and_b32 s82, s82, 0xffffff                               // 0000000069E0: 8652FF52 00FFFFFF
	s_cmp_lt_u32 s82, s66                                      // 0000000069E8: BF0A4252
	s_cselect_b32 s20, s36, s60                                // 0000000069EC: 85143C24
	v_readlane_b32 s82, v3, 23                                 // 0000000069F0: D2890052 00012F03
	s_and_b32 s82, s82, 0xffffff                               // 0000000069F8: 8652FF52 00FFFFFF
	s_cmp_lt_u32 s82, s66                                      // 000000006A00: BF0A4252
	s_cselect_b32 s21, s36, s60                                // 000000006A04: 85153C24
	s_mov_b64 exec, s[20:21]                                   // 000000006A08: BEFE0114
	global_atomic_add_f32 v6, v103, s[8:9] offset:8            // 000000006A0C: DD348008 00086706
	s_mov_b64 exec, s[36:37]                                   // 000000006A14: BEFE0124
	v_mov_b32_e32 v6, v72                                      // 000000006A18: 7E0C0348
	s_mov_b64 s[60:61], 0                                      // 000000006A1C: BEBC0180
	v_readlane_b32 s82, v3, 24                                 // 000000006A20: D2890052 00013103
	s_and_b32 s82, s82, 0xffffff                               // 000000006A28: 8652FF52 00FFFFFF
	s_cmp_lt_u32 s82, s66                                      // 000000006A30: BF0A4252
	s_cselect_b32 s20, s36, s60                                // 000000006A34: 85143C24
	v_readlane_b32 s82, v3, 25                                 // 000000006A38: D2890052 00013303
	s_and_b32 s82, s82, 0xffffff                               // 000000006A40: 8652FF52 00FFFFFF
	s_cmp_lt_u32 s82, s66                                      // 000000006A48: BF0A4252
	s_cselect_b32 s21, s36, s60                                // 000000006A4C: 85153C24
	s_mov_b64 exec, s[20:21]                                   // 000000006A50: BEFE0114
	global_atomic_add_f32 v6, v106, s[8:9] offset:8            // 000000006A54: DD348008 00086A06
	s_mov_b64 exec, s[36:37]                                   // 000000006A5C: BEFE0124
	v_mov_b32_e32 v6, v73                                      // 000000006A60: 7E0C0349
	s_mov_b64 s[60:61], 0                                      // 000000006A64: BEBC0180
	v_readlane_b32 s82, v3, 26                                 // 000000006A68: D2890052 00013503
	s_and_b32 s82, s82, 0xffffff                               // 000000006A70: 8652FF52 00FFFFFF
	s_cmp_lt_u32 s82, s66                                      // 000000006A78: BF0A4252
	s_cselect_b32 s20, s36, s60                                // 000000006A7C: 85143C24
	v_readlane_b32 s82, v3, 27                                 // 000000006A80: D2890052 00013703
	s_and_b32 s82, s82, 0xffffff                               // 000000006A88: 8652FF52 00FFFFFF
	s_cmp_lt_u32 s82, s66                                      // 000000006A90: BF0A4252
	s_cselect_b32 s21, s36, s60                                // 000000006A94: 85153C24
	s_mov_b64 exec, s[20:21]                                   // 000000006A98: BEFE0114
	global_atomic_add_f32 v6, v107, s[8:9] offset:8            // 000000006A9C: DD348008 00086B06
	s_mov_b64 exec, s[36:37]                                   // 000000006AA4: BEFE0124
	v_mov_b32_e32 v6, v74                                      // 000000006AA8: 7E0C034A
	s_mov_b64 s[60:61], 0                                      // 000000006AAC: BEBC0180
	v_readlane_b32 s82, v3, 28                                 // 000000006AB0: D2890052 00013903
	s_and_b32 s82, s82, 0xffffff                               // 000000006AB8: 8652FF52 00FFFFFF
	s_cmp_lt_u32 s82, s66                                      // 000000006AC0: BF0A4252
	s_cselect_b32 s20, s36, s60                                // 000000006AC4: 85143C24
	v_readlane_b32 s82, v3, 29                                 // 000000006AC8: D2890052 00013B03
	s_and_b32 s82, s82, 0xffffff                               // 000000006AD0: 8652FF52 00FFFFFF
	s_cmp_lt_u32 s82, s66                                      // 000000006AD8: BF0A4252
	s_cselect_b32 s21, s36, s60                                // 000000006ADC: 85153C24
	s_mov_b64 exec, s[20:21]                                   // 000000006AE0: BEFE0114
	global_atomic_add_f32 v6, v110, s[8:9] offset:8            // 000000006AE4: DD348008 00086E06
	s_mov_b64 exec, s[36:37]                                   // 000000006AEC: BEFE0124
	v_mov_b32_e32 v6, v75                                      // 000000006AF0: 7E0C034B
	s_mov_b64 s[60:61], 0                                      // 000000006AF4: BEBC0180
	v_readlane_b32 s82, v3, 30                                 // 000000006AF8: D2890052 00013D03
	s_and_b32 s82, s82, 0xffffff                               // 000000006B00: 8652FF52 00FFFFFF
	s_cmp_lt_u32 s82, s66                                      // 000000006B08: BF0A4252
	s_cselect_b32 s20, s36, s60                                // 000000006B0C: 85143C24
	v_readlane_b32 s82, v3, 31                                 // 000000006B10: D2890052 00013F03
	s_and_b32 s82, s82, 0xffffff                               // 000000006B18: 8652FF52 00FFFFFF
	s_cmp_lt_u32 s82, s66                                      // 000000006B20: BF0A4252
	s_cselect_b32 s21, s36, s60                                // 000000006B24: 85153C24
	s_mov_b64 exec, s[20:21]                                   // 000000006B28: BEFE0114
	global_atomic_add_f32 v6, v111, s[8:9] offset:8            // 000000006B2C: DD348008 00086F06
	s_mov_b64 exec, s[36:37]                                   // 000000006B34: BEFE0124
	ds_write_b64 v20, v[112:113]                               // 000000006B38: D89A0000 00007014
	ds_write_b64 v20, v[116:117] offset:2176                   // 000000006B40: D89A0880 00007414
	ds_write_b64 v20, v[120:121] offset:4352                   // 000000006B48: D89A1100 00007814
	ds_write_b64 v20, v[124:125] offset:6528                   // 000000006B50: D89A1980 00007C14
	ds_write_b64 v20, v[128:129] offset:8704                   // 000000006B58: D89A2200 00008014
	ds_write_b64 v20, v[132:133] offset:10880                  // 000000006B60: D89A2A80 00008414
	ds_write_b64 v20, v[136:137] offset:13056                  // 000000006B68: D89A3300 00008814
	ds_write_b64 v20, v[140:141] offset:15232                  // 000000006B70: D89A3B80 00008C14
	s_waitcnt lgkmcnt(0)                                       // 000000006B78: BF8CC07F
	s_barrier                                                  // 000000006B7C: BF8A0000
	ds_read_b32 v112, v21                                      // 000000006B80: D86C0000 70000015
	ds_read_b32 v113, v21 offset:64                            // 000000006B88: D86C0040 71000015
	ds_read_b32 v116, v21 offset:2176                          // 000000006B90: D86C0880 74000015
	ds_read_b32 v117, v21 offset:2240                          // 000000006B98: D86C08C0 75000015
	ds_read_b32 v120, v21 offset:4352                          // 000000006BA0: D86C1100 78000015
	ds_read_b32 v121, v21 offset:4416                          // 000000006BA8: D86C1140 79000015
	ds_read_b32 v124, v21 offset:6528                          // 000000006BB0: D86C1980 7C000015
	ds_read_b32 v125, v21 offset:6592                          // 000000006BB8: D86C19C0 7D000015
	ds_read_b32 v128, v21 offset:8704                          // 000000006BC0: D86C2200 80000015
	ds_read_b32 v129, v21 offset:8768                          // 000000006BC8: D86C2240 81000015
	ds_read_b32 v132, v21 offset:10880                         // 000000006BD0: D86C2A80 84000015
	ds_read_b32 v133, v21 offset:10944                         // 000000006BD8: D86C2AC0 85000015
	ds_read_b32 v136, v21 offset:13056                         // 000000006BE0: D86C3300 88000015
	ds_read_b32 v137, v21 offset:13120                         // 000000006BE8: D86C3340 89000015
	ds_read_b32 v140, v21 offset:15232                         // 000000006BF0: D86C3B80 8C000015
	ds_read_b32 v141, v21 offset:15296                         // 000000006BF8: D86C3BC0 8D000015
	s_mul_i32 s60, s65, 4                                      // 000000006C00: 923C8441
	s_add_u32 s8, s60, s8                                      // 000000006C04: 8008083C
	s_addc_u32 s9, 0, s9                                       // 000000006C08: 82090980
	s_waitcnt lgkmcnt(0)                                       // 000000006C0C: BF8CC07F
	v_mov_b32_e32 v7, 0                                        // 000000006C10: 7E0E0280
	s_mov_b64 exec, s[36:37]                                   // 000000006C14: BEFE0124
	v_mov_b32_e32 v6, v60                                      // 000000006C18: 7E0C033C
	s_mov_b64 s[60:61], 0                                      // 000000006C1C: BEBC0180
	v_readlane_b32 s82, v3, 0                                  // 000000006C20: D2890052 00010103
	s_and_b32 s82, s82, 0xffffff                               // 000000006C28: 8652FF52 00FFFFFF
	s_cmp_lt_u32 s82, s66                                      // 000000006C30: BF0A4252
	s_cselect_b32 s20, s36, s60                                // 000000006C34: 85143C24
	v_readlane_b32 s82, v3, 1                                  // 000000006C38: D2890052 00010303
	s_and_b32 s82, s82, 0xffffff                               // 000000006C40: 8652FF52 00FFFFFF
	s_cmp_lt_u32 s82, s66                                      // 000000006C48: BF0A4252
	s_cselect_b32 s21, s36, s60                                // 000000006C4C: 85153C24
	s_mov_b64 exec, s[20:21]                                   // 000000006C50: BEFE0114
	global_atomic_add_f32 v6, v112, s[8:9]                     // 000000006C54: DD348000 00087006
	s_mov_b64 exec, s[36:37]                                   // 000000006C5C: BEFE0124
	v_mov_b32_e32 v6, v61                                      // 000000006C60: 7E0C033D
	s_mov_b64 s[60:61], 0                                      // 000000006C64: BEBC0180
	v_readlane_b32 s82, v3, 2                                  // 000000006C68: D2890052 00010503
	s_and_b32 s82, s82, 0xffffff                               // 000000006C70: 8652FF52 00FFFFFF
	s_cmp_lt_u32 s82, s66                                      // 000000006C78: BF0A4252
	s_cselect_b32 s20, s36, s60                                // 000000006C7C: 85143C24
	v_readlane_b32 s82, v3, 3                                  // 000000006C80: D2890052 00010703
	s_and_b32 s82, s82, 0xffffff                               // 000000006C88: 8652FF52 00FFFFFF
	s_cmp_lt_u32 s82, s66                                      // 000000006C90: BF0A4252
	s_cselect_b32 s21, s36, s60                                // 000000006C94: 85153C24
	s_mov_b64 exec, s[20:21]                                   // 000000006C98: BEFE0114
	global_atomic_add_f32 v6, v113, s[8:9]                     // 000000006C9C: DD348000 00087106
	s_mov_b64 exec, s[36:37]                                   // 000000006CA4: BEFE0124
	v_mov_b32_e32 v6, v62                                      // 000000006CA8: 7E0C033E
	s_mov_b64 s[60:61], 0                                      // 000000006CAC: BEBC0180
	v_readlane_b32 s82, v3, 4                                  // 000000006CB0: D2890052 00010903
	s_and_b32 s82, s82, 0xffffff                               // 000000006CB8: 8652FF52 00FFFFFF
	s_cmp_lt_u32 s82, s66                                      // 000000006CC0: BF0A4252
	s_cselect_b32 s20, s36, s60                                // 000000006CC4: 85143C24
	v_readlane_b32 s82, v3, 5                                  // 000000006CC8: D2890052 00010B03
	s_and_b32 s82, s82, 0xffffff                               // 000000006CD0: 8652FF52 00FFFFFF
	s_cmp_lt_u32 s82, s66                                      // 000000006CD8: BF0A4252
	s_cselect_b32 s21, s36, s60                                // 000000006CDC: 85153C24
	s_mov_b64 exec, s[20:21]                                   // 000000006CE0: BEFE0114
	global_atomic_add_f32 v6, v116, s[8:9]                     // 000000006CE4: DD348000 00087406
	s_mov_b64 exec, s[36:37]                                   // 000000006CEC: BEFE0124
	v_mov_b32_e32 v6, v63                                      // 000000006CF0: 7E0C033F
	s_mov_b64 s[60:61], 0                                      // 000000006CF4: BEBC0180
	v_readlane_b32 s82, v3, 6                                  // 000000006CF8: D2890052 00010D03
	s_and_b32 s82, s82, 0xffffff                               // 000000006D00: 8652FF52 00FFFFFF
	s_cmp_lt_u32 s82, s66                                      // 000000006D08: BF0A4252
	s_cselect_b32 s20, s36, s60                                // 000000006D0C: 85143C24
	v_readlane_b32 s82, v3, 7                                  // 000000006D10: D2890052 00010F03
	s_and_b32 s82, s82, 0xffffff                               // 000000006D18: 8652FF52 00FFFFFF
	s_cmp_lt_u32 s82, s66                                      // 000000006D20: BF0A4252
	s_cselect_b32 s21, s36, s60                                // 000000006D24: 85153C24
	s_mov_b64 exec, s[20:21]                                   // 000000006D28: BEFE0114
	global_atomic_add_f32 v6, v117, s[8:9]                     // 000000006D2C: DD348000 00087506
	s_mov_b64 exec, s[36:37]                                   // 000000006D34: BEFE0124
	v_mov_b32_e32 v6, v64                                      // 000000006D38: 7E0C0340
	s_mov_b64 s[60:61], 0                                      // 000000006D3C: BEBC0180
	v_readlane_b32 s82, v3, 8                                  // 000000006D40: D2890052 00011103
	s_and_b32 s82, s82, 0xffffff                               // 000000006D48: 8652FF52 00FFFFFF
	s_cmp_lt_u32 s82, s66                                      // 000000006D50: BF0A4252
	s_cselect_b32 s20, s36, s60                                // 000000006D54: 85143C24
	v_readlane_b32 s82, v3, 9                                  // 000000006D58: D2890052 00011303
	s_and_b32 s82, s82, 0xffffff                               // 000000006D60: 8652FF52 00FFFFFF
	s_cmp_lt_u32 s82, s66                                      // 000000006D68: BF0A4252
	s_cselect_b32 s21, s36, s60                                // 000000006D6C: 85153C24
	s_mov_b64 exec, s[20:21]                                   // 000000006D70: BEFE0114
	global_atomic_add_f32 v6, v120, s[8:9]                     // 000000006D74: DD348000 00087806
	s_mov_b64 exec, s[36:37]                                   // 000000006D7C: BEFE0124
	v_mov_b32_e32 v6, v65                                      // 000000006D80: 7E0C0341
	s_mov_b64 s[60:61], 0                                      // 000000006D84: BEBC0180
	v_readlane_b32 s82, v3, 10                                 // 000000006D88: D2890052 00011503
	s_and_b32 s82, s82, 0xffffff                               // 000000006D90: 8652FF52 00FFFFFF
	s_cmp_lt_u32 s82, s66                                      // 000000006D98: BF0A4252
	s_cselect_b32 s20, s36, s60                                // 000000006D9C: 85143C24
	v_readlane_b32 s82, v3, 11                                 // 000000006DA0: D2890052 00011703
	s_and_b32 s82, s82, 0xffffff                               // 000000006DA8: 8652FF52 00FFFFFF
	s_cmp_lt_u32 s82, s66                                      // 000000006DB0: BF0A4252
	s_cselect_b32 s21, s36, s60                                // 000000006DB4: 85153C24
	s_mov_b64 exec, s[20:21]                                   // 000000006DB8: BEFE0114
	global_atomic_add_f32 v6, v121, s[8:9]                     // 000000006DBC: DD348000 00087906
	s_mov_b64 exec, s[36:37]                                   // 000000006DC4: BEFE0124
	v_mov_b32_e32 v6, v66                                      // 000000006DC8: 7E0C0342
	s_mov_b64 s[60:61], 0                                      // 000000006DCC: BEBC0180
	v_readlane_b32 s82, v3, 12                                 // 000000006DD0: D2890052 00011903
	s_and_b32 s82, s82, 0xffffff                               // 000000006DD8: 8652FF52 00FFFFFF
	s_cmp_lt_u32 s82, s66                                      // 000000006DE0: BF0A4252
	s_cselect_b32 s20, s36, s60                                // 000000006DE4: 85143C24
	v_readlane_b32 s82, v3, 13                                 // 000000006DE8: D2890052 00011B03
	s_and_b32 s82, s82, 0xffffff                               // 000000006DF0: 8652FF52 00FFFFFF
	s_cmp_lt_u32 s82, s66                                      // 000000006DF8: BF0A4252
	s_cselect_b32 s21, s36, s60                                // 000000006DFC: 85153C24
	s_mov_b64 exec, s[20:21]                                   // 000000006E00: BEFE0114
	global_atomic_add_f32 v6, v124, s[8:9]                     // 000000006E04: DD348000 00087C06
	s_mov_b64 exec, s[36:37]                                   // 000000006E0C: BEFE0124
	v_mov_b32_e32 v6, v67                                      // 000000006E10: 7E0C0343
	s_mov_b64 s[60:61], 0                                      // 000000006E14: BEBC0180
	v_readlane_b32 s82, v3, 14                                 // 000000006E18: D2890052 00011D03
	s_and_b32 s82, s82, 0xffffff                               // 000000006E20: 8652FF52 00FFFFFF
	s_cmp_lt_u32 s82, s66                                      // 000000006E28: BF0A4252
	s_cselect_b32 s20, s36, s60                                // 000000006E2C: 85143C24
	v_readlane_b32 s82, v3, 15                                 // 000000006E30: D2890052 00011F03
	s_and_b32 s82, s82, 0xffffff                               // 000000006E38: 8652FF52 00FFFFFF
	s_cmp_lt_u32 s82, s66                                      // 000000006E40: BF0A4252
	s_cselect_b32 s21, s36, s60                                // 000000006E44: 85153C24
	s_mov_b64 exec, s[20:21]                                   // 000000006E48: BEFE0114
	global_atomic_add_f32 v6, v125, s[8:9]                     // 000000006E4C: DD348000 00087D06
	s_mov_b64 exec, s[36:37]                                   // 000000006E54: BEFE0124
	v_mov_b32_e32 v6, v68                                      // 000000006E58: 7E0C0344
	s_mov_b64 s[60:61], 0                                      // 000000006E5C: BEBC0180
	v_readlane_b32 s82, v3, 16                                 // 000000006E60: D2890052 00012103
	s_and_b32 s82, s82, 0xffffff                               // 000000006E68: 8652FF52 00FFFFFF
	s_cmp_lt_u32 s82, s66                                      // 000000006E70: BF0A4252
	s_cselect_b32 s20, s36, s60                                // 000000006E74: 85143C24
	v_readlane_b32 s82, v3, 17                                 // 000000006E78: D2890052 00012303
	s_and_b32 s82, s82, 0xffffff                               // 000000006E80: 8652FF52 00FFFFFF
	s_cmp_lt_u32 s82, s66                                      // 000000006E88: BF0A4252
	s_cselect_b32 s21, s36, s60                                // 000000006E8C: 85153C24
	s_mov_b64 exec, s[20:21]                                   // 000000006E90: BEFE0114
	global_atomic_add_f32 v6, v128, s[8:9]                     // 000000006E94: DD348000 00088006
	s_mov_b64 exec, s[36:37]                                   // 000000006E9C: BEFE0124
	v_mov_b32_e32 v6, v69                                      // 000000006EA0: 7E0C0345
	s_mov_b64 s[60:61], 0                                      // 000000006EA4: BEBC0180
	v_readlane_b32 s82, v3, 18                                 // 000000006EA8: D2890052 00012503
	s_and_b32 s82, s82, 0xffffff                               // 000000006EB0: 8652FF52 00FFFFFF
	s_cmp_lt_u32 s82, s66                                      // 000000006EB8: BF0A4252
	s_cselect_b32 s20, s36, s60                                // 000000006EBC: 85143C24
	v_readlane_b32 s82, v3, 19                                 // 000000006EC0: D2890052 00012703
	s_and_b32 s82, s82, 0xffffff                               // 000000006EC8: 8652FF52 00FFFFFF
	s_cmp_lt_u32 s82, s66                                      // 000000006ED0: BF0A4252
	s_cselect_b32 s21, s36, s60                                // 000000006ED4: 85153C24
	s_mov_b64 exec, s[20:21]                                   // 000000006ED8: BEFE0114
	global_atomic_add_f32 v6, v129, s[8:9]                     // 000000006EDC: DD348000 00088106
	s_mov_b64 exec, s[36:37]                                   // 000000006EE4: BEFE0124
	v_mov_b32_e32 v6, v70                                      // 000000006EE8: 7E0C0346
	s_mov_b64 s[60:61], 0                                      // 000000006EEC: BEBC0180
	v_readlane_b32 s82, v3, 20                                 // 000000006EF0: D2890052 00012903
	s_and_b32 s82, s82, 0xffffff                               // 000000006EF8: 8652FF52 00FFFFFF
	s_cmp_lt_u32 s82, s66                                      // 000000006F00: BF0A4252
	s_cselect_b32 s20, s36, s60                                // 000000006F04: 85143C24
	v_readlane_b32 s82, v3, 21                                 // 000000006F08: D2890052 00012B03
	s_and_b32 s82, s82, 0xffffff                               // 000000006F10: 8652FF52 00FFFFFF
	s_cmp_lt_u32 s82, s66                                      // 000000006F18: BF0A4252
	s_cselect_b32 s21, s36, s60                                // 000000006F1C: 85153C24
	s_mov_b64 exec, s[20:21]                                   // 000000006F20: BEFE0114
	global_atomic_add_f32 v6, v132, s[8:9]                     // 000000006F24: DD348000 00088406
	s_mov_b64 exec, s[36:37]                                   // 000000006F2C: BEFE0124
	v_mov_b32_e32 v6, v71                                      // 000000006F30: 7E0C0347
	s_mov_b64 s[60:61], 0                                      // 000000006F34: BEBC0180
	v_readlane_b32 s82, v3, 22                                 // 000000006F38: D2890052 00012D03
	s_and_b32 s82, s82, 0xffffff                               // 000000006F40: 8652FF52 00FFFFFF
	s_cmp_lt_u32 s82, s66                                      // 000000006F48: BF0A4252
	s_cselect_b32 s20, s36, s60                                // 000000006F4C: 85143C24
	v_readlane_b32 s82, v3, 23                                 // 000000006F50: D2890052 00012F03
	s_and_b32 s82, s82, 0xffffff                               // 000000006F58: 8652FF52 00FFFFFF
	s_cmp_lt_u32 s82, s66                                      // 000000006F60: BF0A4252
	s_cselect_b32 s21, s36, s60                                // 000000006F64: 85153C24
	s_mov_b64 exec, s[20:21]                                   // 000000006F68: BEFE0114
	global_atomic_add_f32 v6, v133, s[8:9]                     // 000000006F6C: DD348000 00088506
	s_mov_b64 exec, s[36:37]                                   // 000000006F74: BEFE0124
	v_mov_b32_e32 v6, v72                                      // 000000006F78: 7E0C0348
	s_mov_b64 s[60:61], 0                                      // 000000006F7C: BEBC0180
	v_readlane_b32 s82, v3, 24                                 // 000000006F80: D2890052 00013103
	s_and_b32 s82, s82, 0xffffff                               // 000000006F88: 8652FF52 00FFFFFF
	s_cmp_lt_u32 s82, s66                                      // 000000006F90: BF0A4252
	s_cselect_b32 s20, s36, s60                                // 000000006F94: 85143C24
	v_readlane_b32 s82, v3, 25                                 // 000000006F98: D2890052 00013303
	s_and_b32 s82, s82, 0xffffff                               // 000000006FA0: 8652FF52 00FFFFFF
	s_cmp_lt_u32 s82, s66                                      // 000000006FA8: BF0A4252
	s_cselect_b32 s21, s36, s60                                // 000000006FAC: 85153C24
	s_mov_b64 exec, s[20:21]                                   // 000000006FB0: BEFE0114
	global_atomic_add_f32 v6, v136, s[8:9]                     // 000000006FB4: DD348000 00088806
	s_mov_b64 exec, s[36:37]                                   // 000000006FBC: BEFE0124
	v_mov_b32_e32 v6, v73                                      // 000000006FC0: 7E0C0349
	s_mov_b64 s[60:61], 0                                      // 000000006FC4: BEBC0180
	v_readlane_b32 s82, v3, 26                                 // 000000006FC8: D2890052 00013503
	s_and_b32 s82, s82, 0xffffff                               // 000000006FD0: 8652FF52 00FFFFFF
	s_cmp_lt_u32 s82, s66                                      // 000000006FD8: BF0A4252
	s_cselect_b32 s20, s36, s60                                // 000000006FDC: 85143C24
	v_readlane_b32 s82, v3, 27                                 // 000000006FE0: D2890052 00013703
	s_and_b32 s82, s82, 0xffffff                               // 000000006FE8: 8652FF52 00FFFFFF
	s_cmp_lt_u32 s82, s66                                      // 000000006FF0: BF0A4252
	s_cselect_b32 s21, s36, s60                                // 000000006FF4: 85153C24
	s_mov_b64 exec, s[20:21]                                   // 000000006FF8: BEFE0114
	global_atomic_add_f32 v6, v137, s[8:9]                     // 000000006FFC: DD348000 00088906
	s_mov_b64 exec, s[36:37]                                   // 000000007004: BEFE0124
	v_mov_b32_e32 v6, v74                                      // 000000007008: 7E0C034A
	s_mov_b64 s[60:61], 0                                      // 00000000700C: BEBC0180
	v_readlane_b32 s82, v3, 28                                 // 000000007010: D2890052 00013903
	s_and_b32 s82, s82, 0xffffff                               // 000000007018: 8652FF52 00FFFFFF
	s_cmp_lt_u32 s82, s66                                      // 000000007020: BF0A4252
	s_cselect_b32 s20, s36, s60                                // 000000007024: 85143C24
	v_readlane_b32 s82, v3, 29                                 // 000000007028: D2890052 00013B03
	s_and_b32 s82, s82, 0xffffff                               // 000000007030: 8652FF52 00FFFFFF
	s_cmp_lt_u32 s82, s66                                      // 000000007038: BF0A4252
	s_cselect_b32 s21, s36, s60                                // 00000000703C: 85153C24
	s_mov_b64 exec, s[20:21]                                   // 000000007040: BEFE0114
	global_atomic_add_f32 v6, v140, s[8:9]                     // 000000007044: DD348000 00088C06
	s_mov_b64 exec, s[36:37]                                   // 00000000704C: BEFE0124
	v_mov_b32_e32 v6, v75                                      // 000000007050: 7E0C034B
	s_mov_b64 s[60:61], 0                                      // 000000007054: BEBC0180
	v_readlane_b32 s82, v3, 30                                 // 000000007058: D2890052 00013D03
	s_and_b32 s82, s82, 0xffffff                               // 000000007060: 8652FF52 00FFFFFF
	s_cmp_lt_u32 s82, s66                                      // 000000007068: BF0A4252
	s_cselect_b32 s20, s36, s60                                // 00000000706C: 85143C24
	v_readlane_b32 s82, v3, 31                                 // 000000007070: D2890052 00013F03
	s_and_b32 s82, s82, 0xffffff                               // 000000007078: 8652FF52 00FFFFFF
	s_cmp_lt_u32 s82, s66                                      // 000000007080: BF0A4252
	s_cselect_b32 s21, s36, s60                                // 000000007084: 85153C24
	s_mov_b64 exec, s[20:21]                                   // 000000007088: BEFE0114
	global_atomic_add_f32 v6, v141, s[8:9]                     // 00000000708C: DD348000 00088D06
	s_mov_b64 exec, s[36:37]                                   // 000000007094: BEFE0124
	ds_write_b64 v20, v[114:115]                               // 000000007098: D89A0000 00007214
	ds_write_b64 v20, v[118:119] offset:2176                   // 0000000070A0: D89A0880 00007614
	ds_write_b64 v20, v[122:123] offset:4352                   // 0000000070A8: D89A1100 00007A14
	ds_write_b64 v20, v[126:127] offset:6528                   // 0000000070B0: D89A1980 00007E14
	ds_write_b64 v20, v[130:131] offset:8704                   // 0000000070B8: D89A2200 00008214
	ds_write_b64 v20, v[134:135] offset:10880                  // 0000000070C0: D89A2A80 00008614
	ds_write_b64 v20, v[138:139] offset:13056                  // 0000000070C8: D89A3300 00008A14
	ds_write_b64 v20, v[142:143] offset:15232                  // 0000000070D0: D89A3B80 00008E14
	s_waitcnt lgkmcnt(0)                                       // 0000000070D8: BF8CC07F
	s_barrier                                                  // 0000000070DC: BF8A0000
	ds_read_b32 v114, v21                                      // 0000000070E0: D86C0000 72000015
	ds_read_b32 v115, v21 offset:64                            // 0000000070E8: D86C0040 73000015
	ds_read_b32 v118, v21 offset:2176                          // 0000000070F0: D86C0880 76000015
	ds_read_b32 v119, v21 offset:2240                          // 0000000070F8: D86C08C0 77000015
	ds_read_b32 v122, v21 offset:4352                          // 000000007100: D86C1100 7A000015
	ds_read_b32 v123, v21 offset:4416                          // 000000007108: D86C1140 7B000015
	ds_read_b32 v126, v21 offset:6528                          // 000000007110: D86C1980 7E000015
	ds_read_b32 v127, v21 offset:6592                          // 000000007118: D86C19C0 7F000015
	ds_read_b32 v130, v21 offset:8704                          // 000000007120: D86C2200 82000015
	ds_read_b32 v131, v21 offset:8768                          // 000000007128: D86C2240 83000015
	ds_read_b32 v134, v21 offset:10880                         // 000000007130: D86C2A80 86000015
	ds_read_b32 v135, v21 offset:10944                         // 000000007138: D86C2AC0 87000015
	ds_read_b32 v138, v21 offset:13056                         // 000000007140: D86C3300 8A000015
	ds_read_b32 v139, v21 offset:13120                         // 000000007148: D86C3340 8B000015
	ds_read_b32 v142, v21 offset:15232                         // 000000007150: D86C3B80 8E000015
	ds_read_b32 v143, v21 offset:15296                         // 000000007158: D86C3BC0 8F000015
	s_waitcnt lgkmcnt(0)                                       // 000000007160: BF8CC07F
	v_mov_b32_e32 v7, 0                                        // 000000007164: 7E0E0280
	s_mov_b64 exec, s[36:37]                                   // 000000007168: BEFE0124
	v_mov_b32_e32 v6, v60                                      // 00000000716C: 7E0C033C
	s_mov_b64 s[60:61], 0                                      // 000000007170: BEBC0180
	v_readlane_b32 s82, v3, 0                                  // 000000007174: D2890052 00010103
	s_and_b32 s82, s82, 0xffffff                               // 00000000717C: 8652FF52 00FFFFFF
	s_cmp_lt_u32 s82, s66                                      // 000000007184: BF0A4252
	s_cselect_b32 s20, s36, s60                                // 000000007188: 85143C24
	v_readlane_b32 s82, v3, 1                                  // 00000000718C: D2890052 00010303
	s_and_b32 s82, s82, 0xffffff                               // 000000007194: 8652FF52 00FFFFFF
	s_cmp_lt_u32 s82, s66                                      // 00000000719C: BF0A4252
	s_cselect_b32 s21, s36, s60                                // 0000000071A0: 85153C24
	s_mov_b64 exec, s[20:21]                                   // 0000000071A4: BEFE0114
	global_atomic_add_f32 v6, v114, s[8:9] offset:8            // 0000000071A8: DD348008 00087206
	s_mov_b64 exec, s[36:37]                                   // 0000000071B0: BEFE0124
	v_mov_b32_e32 v6, v61                                      // 0000000071B4: 7E0C033D
	s_mov_b64 s[60:61], 0                                      // 0000000071B8: BEBC0180
	v_readlane_b32 s82, v3, 2                                  // 0000000071BC: D2890052 00010503
	s_and_b32 s82, s82, 0xffffff                               // 0000000071C4: 8652FF52 00FFFFFF
	s_cmp_lt_u32 s82, s66                                      // 0000000071CC: BF0A4252
	s_cselect_b32 s20, s36, s60                                // 0000000071D0: 85143C24
	v_readlane_b32 s82, v3, 3                                  // 0000000071D4: D2890052 00010703
	s_and_b32 s82, s82, 0xffffff                               // 0000000071DC: 8652FF52 00FFFFFF
	s_cmp_lt_u32 s82, s66                                      // 0000000071E4: BF0A4252
	s_cselect_b32 s21, s36, s60                                // 0000000071E8: 85153C24
	s_mov_b64 exec, s[20:21]                                   // 0000000071EC: BEFE0114
	global_atomic_add_f32 v6, v115, s[8:9] offset:8            // 0000000071F0: DD348008 00087306
	s_mov_b64 exec, s[36:37]                                   // 0000000071F8: BEFE0124
	v_mov_b32_e32 v6, v62                                      // 0000000071FC: 7E0C033E
	s_mov_b64 s[60:61], 0                                      // 000000007200: BEBC0180
	v_readlane_b32 s82, v3, 4                                  // 000000007204: D2890052 00010903
	s_and_b32 s82, s82, 0xffffff                               // 00000000720C: 8652FF52 00FFFFFF
	s_cmp_lt_u32 s82, s66                                      // 000000007214: BF0A4252
	s_cselect_b32 s20, s36, s60                                // 000000007218: 85143C24
	v_readlane_b32 s82, v3, 5                                  // 00000000721C: D2890052 00010B03
	s_and_b32 s82, s82, 0xffffff                               // 000000007224: 8652FF52 00FFFFFF
	s_cmp_lt_u32 s82, s66                                      // 00000000722C: BF0A4252
	s_cselect_b32 s21, s36, s60                                // 000000007230: 85153C24
	s_mov_b64 exec, s[20:21]                                   // 000000007234: BEFE0114
	global_atomic_add_f32 v6, v118, s[8:9] offset:8            // 000000007238: DD348008 00087606
	s_mov_b64 exec, s[36:37]                                   // 000000007240: BEFE0124
	v_mov_b32_e32 v6, v63                                      // 000000007244: 7E0C033F
	s_mov_b64 s[60:61], 0                                      // 000000007248: BEBC0180
	v_readlane_b32 s82, v3, 6                                  // 00000000724C: D2890052 00010D03
	s_and_b32 s82, s82, 0xffffff                               // 000000007254: 8652FF52 00FFFFFF
	s_cmp_lt_u32 s82, s66                                      // 00000000725C: BF0A4252
	s_cselect_b32 s20, s36, s60                                // 000000007260: 85143C24
	v_readlane_b32 s82, v3, 7                                  // 000000007264: D2890052 00010F03
	s_and_b32 s82, s82, 0xffffff                               // 00000000726C: 8652FF52 00FFFFFF
	s_cmp_lt_u32 s82, s66                                      // 000000007274: BF0A4252
	s_cselect_b32 s21, s36, s60                                // 000000007278: 85153C24
	s_mov_b64 exec, s[20:21]                                   // 00000000727C: BEFE0114
	global_atomic_add_f32 v6, v119, s[8:9] offset:8            // 000000007280: DD348008 00087706
	s_mov_b64 exec, s[36:37]                                   // 000000007288: BEFE0124
	v_mov_b32_e32 v6, v64                                      // 00000000728C: 7E0C0340
	s_mov_b64 s[60:61], 0                                      // 000000007290: BEBC0180
	v_readlane_b32 s82, v3, 8                                  // 000000007294: D2890052 00011103
	s_and_b32 s82, s82, 0xffffff                               // 00000000729C: 8652FF52 00FFFFFF
	s_cmp_lt_u32 s82, s66                                      // 0000000072A4: BF0A4252
	s_cselect_b32 s20, s36, s60                                // 0000000072A8: 85143C24
	v_readlane_b32 s82, v3, 9                                  // 0000000072AC: D2890052 00011303
	s_and_b32 s82, s82, 0xffffff                               // 0000000072B4: 8652FF52 00FFFFFF
	s_cmp_lt_u32 s82, s66                                      // 0000000072BC: BF0A4252
	s_cselect_b32 s21, s36, s60                                // 0000000072C0: 85153C24
	s_mov_b64 exec, s[20:21]                                   // 0000000072C4: BEFE0114
	global_atomic_add_f32 v6, v122, s[8:9] offset:8            // 0000000072C8: DD348008 00087A06
	s_mov_b64 exec, s[36:37]                                   // 0000000072D0: BEFE0124
	v_mov_b32_e32 v6, v65                                      // 0000000072D4: 7E0C0341
	s_mov_b64 s[60:61], 0                                      // 0000000072D8: BEBC0180
	v_readlane_b32 s82, v3, 10                                 // 0000000072DC: D2890052 00011503
	s_and_b32 s82, s82, 0xffffff                               // 0000000072E4: 8652FF52 00FFFFFF
	s_cmp_lt_u32 s82, s66                                      // 0000000072EC: BF0A4252
	s_cselect_b32 s20, s36, s60                                // 0000000072F0: 85143C24
	v_readlane_b32 s82, v3, 11                                 // 0000000072F4: D2890052 00011703
	s_and_b32 s82, s82, 0xffffff                               // 0000000072FC: 8652FF52 00FFFFFF
	s_cmp_lt_u32 s82, s66                                      // 000000007304: BF0A4252
	s_cselect_b32 s21, s36, s60                                // 000000007308: 85153C24
	s_mov_b64 exec, s[20:21]                                   // 00000000730C: BEFE0114
	global_atomic_add_f32 v6, v123, s[8:9] offset:8            // 000000007310: DD348008 00087B06
	s_mov_b64 exec, s[36:37]                                   // 000000007318: BEFE0124
	v_mov_b32_e32 v6, v66                                      // 00000000731C: 7E0C0342
	s_mov_b64 s[60:61], 0                                      // 000000007320: BEBC0180
	v_readlane_b32 s82, v3, 12                                 // 000000007324: D2890052 00011903
	s_and_b32 s82, s82, 0xffffff                               // 00000000732C: 8652FF52 00FFFFFF
	s_cmp_lt_u32 s82, s66                                      // 000000007334: BF0A4252
	s_cselect_b32 s20, s36, s60                                // 000000007338: 85143C24
	v_readlane_b32 s82, v3, 13                                 // 00000000733C: D2890052 00011B03
	s_and_b32 s82, s82, 0xffffff                               // 000000007344: 8652FF52 00FFFFFF
	s_cmp_lt_u32 s82, s66                                      // 00000000734C: BF0A4252
	s_cselect_b32 s21, s36, s60                                // 000000007350: 85153C24
	s_mov_b64 exec, s[20:21]                                   // 000000007354: BEFE0114
	global_atomic_add_f32 v6, v126, s[8:9] offset:8            // 000000007358: DD348008 00087E06
	s_mov_b64 exec, s[36:37]                                   // 000000007360: BEFE0124
	v_mov_b32_e32 v6, v67                                      // 000000007364: 7E0C0343
	s_mov_b64 s[60:61], 0                                      // 000000007368: BEBC0180
	v_readlane_b32 s82, v3, 14                                 // 00000000736C: D2890052 00011D03
	s_and_b32 s82, s82, 0xffffff                               // 000000007374: 8652FF52 00FFFFFF
	s_cmp_lt_u32 s82, s66                                      // 00000000737C: BF0A4252
	s_cselect_b32 s20, s36, s60                                // 000000007380: 85143C24
	v_readlane_b32 s82, v3, 15                                 // 000000007384: D2890052 00011F03
	s_and_b32 s82, s82, 0xffffff                               // 00000000738C: 8652FF52 00FFFFFF
	s_cmp_lt_u32 s82, s66                                      // 000000007394: BF0A4252
	s_cselect_b32 s21, s36, s60                                // 000000007398: 85153C24
	s_mov_b64 exec, s[20:21]                                   // 00000000739C: BEFE0114
	global_atomic_add_f32 v6, v127, s[8:9] offset:8            // 0000000073A0: DD348008 00087F06
	s_mov_b64 exec, s[36:37]                                   // 0000000073A8: BEFE0124
	v_mov_b32_e32 v6, v68                                      // 0000000073AC: 7E0C0344
	s_mov_b64 s[60:61], 0                                      // 0000000073B0: BEBC0180
	v_readlane_b32 s82, v3, 16                                 // 0000000073B4: D2890052 00012103
	s_and_b32 s82, s82, 0xffffff                               // 0000000073BC: 8652FF52 00FFFFFF
	s_cmp_lt_u32 s82, s66                                      // 0000000073C4: BF0A4252
	s_cselect_b32 s20, s36, s60                                // 0000000073C8: 85143C24
	v_readlane_b32 s82, v3, 17                                 // 0000000073CC: D2890052 00012303
	s_and_b32 s82, s82, 0xffffff                               // 0000000073D4: 8652FF52 00FFFFFF
	s_cmp_lt_u32 s82, s66                                      // 0000000073DC: BF0A4252
	s_cselect_b32 s21, s36, s60                                // 0000000073E0: 85153C24
	s_mov_b64 exec, s[20:21]                                   // 0000000073E4: BEFE0114
	global_atomic_add_f32 v6, v130, s[8:9] offset:8            // 0000000073E8: DD348008 00088206
	s_mov_b64 exec, s[36:37]                                   // 0000000073F0: BEFE0124
	v_mov_b32_e32 v6, v69                                      // 0000000073F4: 7E0C0345
	s_mov_b64 s[60:61], 0                                      // 0000000073F8: BEBC0180
	v_readlane_b32 s82, v3, 18                                 // 0000000073FC: D2890052 00012503
	s_and_b32 s82, s82, 0xffffff                               // 000000007404: 8652FF52 00FFFFFF
	s_cmp_lt_u32 s82, s66                                      // 00000000740C: BF0A4252
	s_cselect_b32 s20, s36, s60                                // 000000007410: 85143C24
	v_readlane_b32 s82, v3, 19                                 // 000000007414: D2890052 00012703
	s_and_b32 s82, s82, 0xffffff                               // 00000000741C: 8652FF52 00FFFFFF
	s_cmp_lt_u32 s82, s66                                      // 000000007424: BF0A4252
	s_cselect_b32 s21, s36, s60                                // 000000007428: 85153C24
	s_mov_b64 exec, s[20:21]                                   // 00000000742C: BEFE0114
	global_atomic_add_f32 v6, v131, s[8:9] offset:8            // 000000007430: DD348008 00088306
	s_mov_b64 exec, s[36:37]                                   // 000000007438: BEFE0124
	v_mov_b32_e32 v6, v70                                      // 00000000743C: 7E0C0346
	s_mov_b64 s[60:61], 0                                      // 000000007440: BEBC0180
	v_readlane_b32 s82, v3, 20                                 // 000000007444: D2890052 00012903
	s_and_b32 s82, s82, 0xffffff                               // 00000000744C: 8652FF52 00FFFFFF
	s_cmp_lt_u32 s82, s66                                      // 000000007454: BF0A4252
	s_cselect_b32 s20, s36, s60                                // 000000007458: 85143C24
	v_readlane_b32 s82, v3, 21                                 // 00000000745C: D2890052 00012B03
	s_and_b32 s82, s82, 0xffffff                               // 000000007464: 8652FF52 00FFFFFF
	s_cmp_lt_u32 s82, s66                                      // 00000000746C: BF0A4252
	s_cselect_b32 s21, s36, s60                                // 000000007470: 85153C24
	s_mov_b64 exec, s[20:21]                                   // 000000007474: BEFE0114
	global_atomic_add_f32 v6, v134, s[8:9] offset:8            // 000000007478: DD348008 00088606
	s_mov_b64 exec, s[36:37]                                   // 000000007480: BEFE0124
	v_mov_b32_e32 v6, v71                                      // 000000007484: 7E0C0347
	s_mov_b64 s[60:61], 0                                      // 000000007488: BEBC0180
	v_readlane_b32 s82, v3, 22                                 // 00000000748C: D2890052 00012D03
	s_and_b32 s82, s82, 0xffffff                               // 000000007494: 8652FF52 00FFFFFF
	s_cmp_lt_u32 s82, s66                                      // 00000000749C: BF0A4252
	s_cselect_b32 s20, s36, s60                                // 0000000074A0: 85143C24
	v_readlane_b32 s82, v3, 23                                 // 0000000074A4: D2890052 00012F03
	s_and_b32 s82, s82, 0xffffff                               // 0000000074AC: 8652FF52 00FFFFFF
	s_cmp_lt_u32 s82, s66                                      // 0000000074B4: BF0A4252
	s_cselect_b32 s21, s36, s60                                // 0000000074B8: 85153C24
	s_mov_b64 exec, s[20:21]                                   // 0000000074BC: BEFE0114
	global_atomic_add_f32 v6, v135, s[8:9] offset:8            // 0000000074C0: DD348008 00088706
	s_mov_b64 exec, s[36:37]                                   // 0000000074C8: BEFE0124
	v_mov_b32_e32 v6, v72                                      // 0000000074CC: 7E0C0348
	s_mov_b64 s[60:61], 0                                      // 0000000074D0: BEBC0180
	v_readlane_b32 s82, v3, 24                                 // 0000000074D4: D2890052 00013103
	s_and_b32 s82, s82, 0xffffff                               // 0000000074DC: 8652FF52 00FFFFFF
	s_cmp_lt_u32 s82, s66                                      // 0000000074E4: BF0A4252
	s_cselect_b32 s20, s36, s60                                // 0000000074E8: 85143C24
	v_readlane_b32 s82, v3, 25                                 // 0000000074EC: D2890052 00013303
	s_and_b32 s82, s82, 0xffffff                               // 0000000074F4: 8652FF52 00FFFFFF
	s_cmp_lt_u32 s82, s66                                      // 0000000074FC: BF0A4252
	s_cselect_b32 s21, s36, s60                                // 000000007500: 85153C24
	s_mov_b64 exec, s[20:21]                                   // 000000007504: BEFE0114
	global_atomic_add_f32 v6, v138, s[8:9] offset:8            // 000000007508: DD348008 00088A06
	s_mov_b64 exec, s[36:37]                                   // 000000007510: BEFE0124
	v_mov_b32_e32 v6, v73                                      // 000000007514: 7E0C0349
	s_mov_b64 s[60:61], 0                                      // 000000007518: BEBC0180
	v_readlane_b32 s82, v3, 26                                 // 00000000751C: D2890052 00013503
	s_and_b32 s82, s82, 0xffffff                               // 000000007524: 8652FF52 00FFFFFF
	s_cmp_lt_u32 s82, s66                                      // 00000000752C: BF0A4252
	s_cselect_b32 s20, s36, s60                                // 000000007530: 85143C24
	v_readlane_b32 s82, v3, 27                                 // 000000007534: D2890052 00013703
	s_and_b32 s82, s82, 0xffffff                               // 00000000753C: 8652FF52 00FFFFFF
	s_cmp_lt_u32 s82, s66                                      // 000000007544: BF0A4252
	s_cselect_b32 s21, s36, s60                                // 000000007548: 85153C24
	s_mov_b64 exec, s[20:21]                                   // 00000000754C: BEFE0114
	global_atomic_add_f32 v6, v139, s[8:9] offset:8            // 000000007550: DD348008 00088B06
	s_mov_b64 exec, s[36:37]                                   // 000000007558: BEFE0124
	v_mov_b32_e32 v6, v74                                      // 00000000755C: 7E0C034A
	s_mov_b64 s[60:61], 0                                      // 000000007560: BEBC0180
	v_readlane_b32 s82, v3, 28                                 // 000000007564: D2890052 00013903
	s_and_b32 s82, s82, 0xffffff                               // 00000000756C: 8652FF52 00FFFFFF
	s_cmp_lt_u32 s82, s66                                      // 000000007574: BF0A4252
	s_cselect_b32 s20, s36, s60                                // 000000007578: 85143C24
	v_readlane_b32 s82, v3, 29                                 // 00000000757C: D2890052 00013B03
	s_and_b32 s82, s82, 0xffffff                               // 000000007584: 8652FF52 00FFFFFF
	s_cmp_lt_u32 s82, s66                                      // 00000000758C: BF0A4252
	s_cselect_b32 s21, s36, s60                                // 000000007590: 85153C24
	s_mov_b64 exec, s[20:21]                                   // 000000007594: BEFE0114
	global_atomic_add_f32 v6, v142, s[8:9] offset:8            // 000000007598: DD348008 00088E06
	s_mov_b64 exec, s[36:37]                                   // 0000000075A0: BEFE0124
	v_mov_b32_e32 v6, v75                                      // 0000000075A4: 7E0C034B
	s_mov_b64 s[60:61], 0                                      // 0000000075A8: BEBC0180
	v_readlane_b32 s82, v3, 30                                 // 0000000075AC: D2890052 00013D03
	s_and_b32 s82, s82, 0xffffff                               // 0000000075B4: 8652FF52 00FFFFFF
	s_cmp_lt_u32 s82, s66                                      // 0000000075BC: BF0A4252
	s_cselect_b32 s20, s36, s60                                // 0000000075C0: 85143C24
	v_readlane_b32 s82, v3, 31                                 // 0000000075C4: D2890052 00013F03
	s_and_b32 s82, s82, 0xffffff                               // 0000000075CC: 8652FF52 00FFFFFF
	s_cmp_lt_u32 s82, s66                                      // 0000000075D4: BF0A4252
	s_cselect_b32 s21, s36, s60                                // 0000000075D8: 85153C24
	s_mov_b64 exec, s[20:21]                                   // 0000000075DC: BEFE0114
	global_atomic_add_f32 v6, v143, s[8:9] offset:8            // 0000000075E0: DD348008 00088F06
	s_mov_b64 exec, s[36:37]                                   // 0000000075E8: BEFE0124
	s_branch label_2293                                        // 0000000075EC: BF820F94

00000000000075f0 <label_12FF>:
	s_waitcnt vmcnt(0) lgkmcnt(0)                              // 0000000075F0: BF8C0070
	s_barrier                                                  // 0000000075F4: BF8A0000
	v_mfma_f32_16x16x32_fp8_fp8 v[80:83], a[128:129], a[0:1], v[80:83]// 0000000075F8: D3F30050 1D420180
	buffer_load_dwordx4 a[136:139], v76, s[84:87], 0 offen     // 000000007600: E05C1000 8095884C
	v_mfma_f32_16x16x32_fp8_fp8 v[80:83], a[130:131], a[2:3], v[80:83]// 000000007608: D3F30050 1D420582
	v_mfma_f32_16x16x32_fp8_fp8 v[80:83], a[132:133], a[4:5], v[80:83]// 000000007610: D3F30050 1D420984
	v_mfma_f32_16x16x32_fp8_fp8 v[80:83], a[134:135], a[6:7], v[80:83]// 000000007618: D3F30050 1D420D86
	v_mfma_f32_16x16x32_fp8_fp8 v[84:87], a[128:129], a[8:9], v[84:87]// 000000007620: D3F30054 1D521180
	buffer_load_dwordx4 a[140:143], v76, s[84:87], 0 offen offset:1024// 000000007628: E05C1400 80958C4C
	buffer_load_dword v60, s[20:23], 0 offen lds               // 000000007630: E0511000 8005003C
	s_add_u32 m0, 0x100, s48                                   // 000000007638: 807C30FF 00000100
	v_mfma_f32_16x16x32_fp8_fp8 v[84:87], a[130:131], a[10:11], v[84:87]// 000000007640: D3F30054 1D521582
	v_mfma_f32_16x16x32_fp8_fp8 v[84:87], a[132:133], a[12:13], v[84:87]// 000000007648: D3F30054 1D521984
	buffer_load_dword v61, s[20:23], 0 offen lds               // 000000007650: E0511000 8005003D
	s_add_u32 m0, 0x200, s48                                   // 000000007658: 807C30FF 00000200
	v_mfma_f32_16x16x32_fp8_fp8 v[84:87], a[134:135], a[14:15], v[84:87]// 000000007660: D3F30054 1D521D86
	v_mfma_f32_16x16x32_fp8_fp8 v[88:91], a[128:129], a[16:17], v[88:91]// 000000007668: D3F30058 1D622180
	buffer_load_dword v62, s[20:23], 0 offen lds               // 000000007670: E0511000 8005003E
	s_add_u32 m0, 0x300, s48                                   // 000000007678: 807C30FF 00000300
	v_mfma_f32_16x16x32_fp8_fp8 v[88:91], a[130:131], a[18:19], v[88:91]// 000000007680: D3F30058 1D622582
	v_mfma_f32_16x16x32_fp8_fp8 v[88:91], a[132:133], a[20:21], v[88:91]// 000000007688: D3F30058 1D622984
	buffer_load_dword v63, s[20:23], 0 offen lds               // 000000007690: E0511000 8005003F
	s_add_u32 m0, 0x400, s48                                   // 000000007698: 807C30FF 00000400
	v_mfma_f32_16x16x32_fp8_fp8 v[88:91], a[134:135], a[22:23], v[88:91]// 0000000076A0: D3F30058 1D622D86
	v_mfma_f32_16x16x32_fp8_fp8 v[92:95], a[128:129], a[24:25], v[92:95]// 0000000076A8: D3F3005C 1D723180
	buffer_load_dword v64, s[20:23], 0 offen lds               // 0000000076B0: E0511000 80050040
	s_add_u32 m0, 0x500, s48                                   // 0000000076B8: 807C30FF 00000500
	v_mfma_f32_16x16x32_fp8_fp8 v[92:95], a[130:131], a[26:27], v[92:95]// 0000000076C0: D3F3005C 1D723582
	v_mfma_f32_16x16x32_fp8_fp8 v[92:95], a[132:133], a[28:29], v[92:95]// 0000000076C8: D3F3005C 1D723984
	buffer_load_dword v65, s[20:23], 0 offen lds               // 0000000076D0: E0511000 80050041
	s_add_u32 m0, 0x600, s48                                   // 0000000076D8: 807C30FF 00000600
	v_mfma_f32_16x16x32_fp8_fp8 v[92:95], a[134:135], a[30:31], v[92:95]// 0000000076E0: D3F3005C 1D723D86
	v_mfma_f32_16x16x32_fp8_fp8 v[96:99], a[128:129], a[32:33], v[96:99]// 0000000076E8: D3F30060 1D824180
	v_mfma_f32_16x16x32_fp8_fp8 v[96:99], a[130:131], a[34:35], v[96:99]// 0000000076F0: D3F30060 1D824582
	v_mfma_f32_16x16x32_fp8_fp8 v[96:99], a[132:133], a[36:37], v[96:99]// 0000000076F8: D3F30060 1D824984
	v_mfma_f32_16x16x32_fp8_fp8 v[96:99], a[134:135], a[38:39], v[96:99]// 000000007700: D3F30060 1D824D86
	v_mfma_f32_16x16x32_fp8_fp8 v[100:103], a[128:129], a[40:41], v[100:103]// 000000007708: D3F30064 1D925180
	buffer_load_dword v66, s[20:23], 0 offen lds               // 000000007710: E0511000 80050042
	s_add_u32 m0, 0x700, s48                                   // 000000007718: 807C30FF 00000700
	v_mfma_f32_16x16x32_fp8_fp8 v[100:103], a[130:131], a[42:43], v[100:103]// 000000007720: D3F30064 1D925582
	v_mfma_f32_16x16x32_fp8_fp8 v[100:103], a[132:133], a[44:45], v[100:103]// 000000007728: D3F30064 1D925984
	buffer_load_dword v67, s[20:23], 0 offen lds               // 000000007730: E0511000 80050043
	s_add_u32 m0, 0x800, s48                                   // 000000007738: 807C30FF 00000800
	v_mfma_f32_16x16x32_fp8_fp8 v[100:103], a[134:135], a[46:47], v[100:103]// 000000007740: D3F30064 1D925D86
	v_mfma_f32_16x16x32_fp8_fp8 v[104:107], a[128:129], a[48:49], v[104:107]// 000000007748: D3F30068 1DA26180
	v_mfma_f32_16x16x32_fp8_fp8 v[104:107], a[130:131], a[50:51], v[104:107]// 000000007750: D3F30068 1DA26582
	v_mfma_f32_16x16x32_fp8_fp8 v[104:107], a[132:133], a[52:53], v[104:107]// 000000007758: D3F30068 1DA26984
	v_mfma_f32_16x16x32_fp8_fp8 v[104:107], a[134:135], a[54:55], v[104:107]// 000000007760: D3F30068 1DA26D86
	v_mfma_f32_16x16x32_fp8_fp8 v[108:111], a[128:129], a[56:57], v[108:111]// 000000007768: D3F3006C 1DB27180
	buffer_load_dword v68, s[20:23], 0 offen lds               // 000000007770: E0511000 80050044
	s_add_u32 m0, 0x900, s48                                   // 000000007778: 807C30FF 00000900
	v_mfma_f32_16x16x32_fp8_fp8 v[108:111], a[130:131], a[58:59], v[108:111]// 000000007780: D3F3006C 1DB27582
	s_add_u32 s60, 0x80, s80                                   // 000000007788: 803C50FF 00000080
	s_cmp_lt_u32 s60, s81                                      // 000000007790: BF0A513C
	s_cselect_b32 s83, s83, 0                                  // 000000007794: 85538053
	v_mfma_f32_16x16x32_fp8_fp8 v[108:111], a[132:133], a[60:61], v[108:111]// 000000007798: D3F3006C 1DB27984
	buffer_load_dword v69, s[20:23], 0 offen lds               // 0000000077A0: E0511000 80050045
	s_add_u32 m0, 0xa00, s48                                   // 0000000077A8: 807C30FF 00000A00
	v_mfma_f32_16x16x32_fp8_fp8 v[108:111], a[134:135], a[62:63], v[108:111]// 0000000077B0: D3F3006C 1DB27D86
	buffer_load_dword v70, s[20:23], 0 offen lds               // 0000000077B8: E0511000 80050046
	s_add_u32 m0, 0xb00, s48                                   // 0000000077C0: 807C30FF 00000B00
	buffer_load_dword v71, s[20:23], 0 offen lds               // 0000000077C8: E0511000 80050047
	s_add_u32 m0, 0xc00, s48                                   // 0000000077D0: 807C30FF 00000C00
	buffer_load_dword v72, s[20:23], 0 offen lds               // 0000000077D8: E0511000 80050048
	s_add_u32 m0, 0xd00, s48                                   // 0000000077E0: 807C30FF 00000D00
	buffer_load_dword v73, s[20:23], 0 offen lds               // 0000000077E8: E0511000 80050049
	s_add_u32 m0, 0xe00, s48                                   // 0000000077F0: 807C30FF 00000E00
	buffer_load_dword v74, s[20:23], 0 offen lds               // 0000000077F8: E0511000 8005004A
	s_add_u32 m0, 0xf00, s48                                   // 000000007800: 807C30FF 00000F00
	buffer_load_dword v75, s[20:23], 0 offen lds               // 000000007808: E0511000 8005004B
	s_add_u32 m0, 0, s49                                       // 000000007810: 807C3180
	s_waitcnt vmcnt(16)                                        // 000000007814: BF8C4F70
	v_mfma_f32_16x16x32_fp8_fp8 v[112:115], a[136:137], a[0:1], v[112:115]// 000000007818: D3F30070 1DC20188
	buffer_load_dwordx4 a[128:131], v76, s[24:27], 0 offen     // 000000007820: E05C1000 8086804C
	v_mfma_f32_16x16x32_fp8_fp8 v[112:115], a[138:139], a[2:3], v[112:115]// 000000007828: D3F30070 1DC2058A
	v_mfma_f32_16x16x32_fp8_fp8 v[112:115], a[140:141], a[4:5], v[112:115]// 000000007830: D3F30070 1DC2098C
	ds_read_b128 a[64:67], v2 offset:16512                     // 000000007838: DBFE4080 40000002
	ds_read_b128 a[68:71], v2 offset:16576                     // 000000007840: DBFE40C0 44000002
	v_mfma_f32_16x16x32_fp8_fp8 v[112:115], a[142:143], a[6:7], v[112:115]// 000000007848: D3F30070 1DC20D8E
	v_mfma_f32_16x16x32_fp8_fp8 v[116:119], a[136:137], a[8:9], v[116:119]// 000000007850: D3F30074 1DD21188
	buffer_load_dwordx4 a[132:135], v76, s[24:27], 0 offen offset:1024// 000000007858: E05C1400 8086844C
	v_mfma_f32_16x16x32_fp8_fp8 v[116:119], a[138:139], a[10:11], v[116:119]// 000000007860: D3F30074 1DD2158A
	v_mfma_f32_16x16x32_fp8_fp8 v[116:119], a[140:141], a[12:13], v[116:119]// 000000007868: D3F30074 1DD2198C
	ds_read_b128 a[72:75], v2 offset:17024                     // 000000007870: DBFE4280 48000002
	ds_read_b128 a[76:79], v2 offset:17088                     // 000000007878: DBFE42C0 4C000002
	v_mfma_f32_16x16x32_fp8_fp8 v[116:119], a[142:143], a[14:15], v[116:119]// 000000007880: D3F30074 1DD21D8E
	v_mfma_f32_16x16x32_fp8_fp8 v[120:123], a[136:137], a[16:17], v[120:123]// 000000007888: D3F30078 1DE22188
	v_mfma_f32_16x16x32_fp8_fp8 v[120:123], a[138:139], a[18:19], v[120:123]// 000000007890: D3F30078 1DE2258A
	v_mfma_f32_16x16x32_fp8_fp8 v[120:123], a[140:141], a[20:21], v[120:123]// 000000007898: D3F30078 1DE2298C
	ds_read_b128 a[80:83], v2 offset:17536                     // 0000000078A0: DBFE4480 50000002
	ds_read_b128 a[84:87], v2 offset:17600                     // 0000000078A8: DBFE44C0 54000002
	v_mfma_f32_16x16x32_fp8_fp8 v[120:123], a[142:143], a[22:23], v[120:123]// 0000000078B0: D3F30078 1DE22D8E
	v_mfma_f32_16x16x32_fp8_fp8 v[124:127], a[136:137], a[24:25], v[124:127]// 0000000078B8: D3F3007C 1DF23188
	v_mfma_f32_16x16x32_fp8_fp8 v[124:127], a[138:139], a[26:27], v[124:127]// 0000000078C0: D3F3007C 1DF2358A
	v_mfma_f32_16x16x32_fp8_fp8 v[124:127], a[140:141], a[28:29], v[124:127]// 0000000078C8: D3F3007C 1DF2398C
	ds_read_b128 a[88:91], v2 offset:18048                     // 0000000078D0: DBFE4680 58000002
	ds_read_b128 a[92:95], v2 offset:18112                     // 0000000078D8: DBFE46C0 5C000002
	v_mfma_f32_16x16x32_fp8_fp8 v[124:127], a[142:143], a[30:31], v[124:127]// 0000000078E0: D3F3007C 1DF23D8E
	v_mfma_f32_16x16x32_fp8_fp8 v[128:131], a[136:137], a[32:33], v[128:131]// 0000000078E8: D3F30080 1E024188
	v_mfma_f32_16x16x32_fp8_fp8 v[128:131], a[138:139], a[34:35], v[128:131]// 0000000078F0: D3F30080 1E02458A
	v_mfma_f32_16x16x32_fp8_fp8 v[128:131], a[140:141], a[36:37], v[128:131]// 0000000078F8: D3F30080 1E02498C
	ds_read_b128 a[96:99], v2 offset:18560                     // 000000007900: DBFE4880 60000002
	ds_read_b128 a[100:103], v2 offset:18624                   // 000000007908: DBFE48C0 64000002
	v_mfma_f32_16x16x32_fp8_fp8 v[128:131], a[142:143], a[38:39], v[128:131]// 000000007910: D3F30080 1E024D8E
	v_mfma_f32_16x16x32_fp8_fp8 v[132:135], a[136:137], a[40:41], v[132:135]// 000000007918: D3F30084 1E125188
	v_mfma_f32_16x16x32_fp8_fp8 v[132:135], a[138:139], a[42:43], v[132:135]// 000000007920: D3F30084 1E12558A
	v_mfma_f32_16x16x32_fp8_fp8 v[132:135], a[140:141], a[44:45], v[132:135]// 000000007928: D3F30084 1E12598C
	ds_read_b128 a[104:107], v2 offset:19072                   // 000000007930: DBFE4A80 68000002
	ds_read_b128 a[108:111], v2 offset:19136                   // 000000007938: DBFE4AC0 6C000002
	v_mfma_f32_16x16x32_fp8_fp8 v[132:135], a[142:143], a[46:47], v[132:135]// 000000007940: D3F30084 1E125D8E
	v_mfma_f32_16x16x32_fp8_fp8 v[136:139], a[136:137], a[48:49], v[136:139]// 000000007948: D3F30088 1E226188
	v_mfma_f32_16x16x32_fp8_fp8 v[136:139], a[138:139], a[50:51], v[136:139]// 000000007950: D3F30088 1E22658A
	v_mfma_f32_16x16x32_fp8_fp8 v[136:139], a[140:141], a[52:53], v[136:139]// 000000007958: D3F30088 1E22698C
	ds_read_b128 a[112:115], v2 offset:19584                   // 000000007960: DBFE4C80 70000002
	ds_read_b128 a[116:119], v2 offset:19648                   // 000000007968: DBFE4CC0 74000002
	s_add_u32 s60, 0x180, s80                                  // 000000007970: 803C50FF 00000180
	s_cmp_lt_u32 s60, s81                                      // 000000007978: BF0A513C
	s_cselect_b32 s57, s57, 0                                  // 00000000797C: 85398039
	v_mfma_f32_16x16x32_fp8_fp8 v[136:139], a[142:143], a[54:55], v[136:139]// 000000007980: D3F30088 1E226D8E
	s_add_u32 s60, 0x100, s80                                  // 000000007988: 803C50FF 00000100
	s_cmp_lt_u32 s60, s81                                      // 000000007990: BF0A513C
	s_cselect_b32 s58, s58, 0                                  // 000000007994: 853A803A
	v_mfma_f32_16x16x32_fp8_fp8 v[140:143], a[136:137], a[56:57], v[140:143]// 000000007998: D3F3008C 1E327188
	s_add_u32 s24, s58, s24                                    // 0000000079A0: 8018183A
	s_addc_u32 s25, 0, s25                                     // 0000000079A4: 82191980
	v_mfma_f32_16x16x32_fp8_fp8 v[140:143], a[138:139], a[58:59], v[140:143]// 0000000079A8: D3F3008C 1E32758A
	s_add_u32 s20, s57, s20                                    // 0000000079B0: 80141439
	s_addc_u32 s21, 0, s21                                     // 0000000079B4: 82151580
	v_mfma_f32_16x16x32_fp8_fp8 v[140:143], a[140:141], a[60:61], v[140:143]// 0000000079B8: D3F3008C 1E32798C
	ds_read_b128 a[120:123], v2 offset:20096                   // 0000000079C0: DBFE4E80 78000002
	ds_read_b128 a[124:127], v2 offset:20160                   // 0000000079C8: DBFE4EC0 7C000002
	s_add_u32 s84, s83, s84                                    // 0000000079D0: 80545453
	s_addc_u32 s85, 0, s85                                     // 0000000079D4: 82555580
	v_mfma_f32_16x16x32_fp8_fp8 v[140:143], a[142:143], a[62:63], v[140:143]// 0000000079D8: D3F3008C 1E327D8E
	s_addk_i32 s80, 0x80                                       // 0000000079E0: B7500080
	s_cmp_lt_i32 s80, s81                                      // 0000000079E4: BF045150
	s_cbranch_scc0 label_14FE                                  // 0000000079E8: BF840100
	s_waitcnt vmcnt(0) lgkmcnt(0)                              // 0000000079EC: BF8C0070
	s_barrier                                                  // 0000000079F0: BF8A0000
	v_mfma_f32_16x16x32_fp8_fp8 v[80:83], a[128:129], a[64:65], v[80:83]// 0000000079F4: D3F30050 1D428180
	buffer_load_dwordx4 a[136:139], v76, s[84:87], 0 offen     // 0000000079FC: E05C1000 8095884C
	v_mfma_f32_16x16x32_fp8_fp8 v[80:83], a[130:131], a[66:67], v[80:83]// 000000007A04: D3F30050 1D428582
	v_mfma_f32_16x16x32_fp8_fp8 v[80:83], a[132:133], a[68:69], v[80:83]// 000000007A0C: D3F30050 1D428984
	v_mfma_f32_16x16x32_fp8_fp8 v[80:83], a[134:135], a[70:71], v[80:83]// 000000007A14: D3F30050 1D428D86
	v_mfma_f32_16x16x32_fp8_fp8 v[84:87], a[128:129], a[72:73], v[84:87]// 000000007A1C: D3F30054 1D529180
	buffer_load_dwordx4 a[140:143], v76, s[84:87], 0 offen offset:1024// 000000007A24: E05C1400 80958C4C
	buffer_load_dword v60, s[20:23], 0 offen lds               // 000000007A2C: E0511000 8005003C
	s_add_u32 m0, 0x100, s49                                   // 000000007A34: 807C31FF 00000100
	v_mfma_f32_16x16x32_fp8_fp8 v[84:87], a[130:131], a[74:75], v[84:87]// 000000007A3C: D3F30054 1D529582
	v_mfma_f32_16x16x32_fp8_fp8 v[84:87], a[132:133], a[76:77], v[84:87]// 000000007A44: D3F30054 1D529984
	buffer_load_dword v61, s[20:23], 0 offen lds               // 000000007A4C: E0511000 8005003D
	s_add_u32 m0, 0x200, s49                                   // 000000007A54: 807C31FF 00000200
	v_mfma_f32_16x16x32_fp8_fp8 v[84:87], a[134:135], a[78:79], v[84:87]// 000000007A5C: D3F30054 1D529D86
	v_mfma_f32_16x16x32_fp8_fp8 v[88:91], a[128:129], a[80:81], v[88:91]// 000000007A64: D3F30058 1D62A180
	buffer_load_dword v62, s[20:23], 0 offen lds               // 000000007A6C: E0511000 8005003E
	s_add_u32 m0, 0x300, s49                                   // 000000007A74: 807C31FF 00000300
	v_mfma_f32_16x16x32_fp8_fp8 v[88:91], a[130:131], a[82:83], v[88:91]// 000000007A7C: D3F30058 1D62A582
	v_mfma_f32_16x16x32_fp8_fp8 v[88:91], a[132:133], a[84:85], v[88:91]// 000000007A84: D3F30058 1D62A984
	buffer_load_dword v63, s[20:23], 0 offen lds               // 000000007A8C: E0511000 8005003F
	s_add_u32 m0, 0x400, s49                                   // 000000007A94: 807C31FF 00000400
	v_mfma_f32_16x16x32_fp8_fp8 v[88:91], a[134:135], a[86:87], v[88:91]// 000000007A9C: D3F30058 1D62AD86
	v_mfma_f32_16x16x32_fp8_fp8 v[92:95], a[128:129], a[88:89], v[92:95]// 000000007AA4: D3F3005C 1D72B180
	buffer_load_dword v64, s[20:23], 0 offen lds               // 000000007AAC: E0511000 80050040
	s_add_u32 m0, 0x500, s49                                   // 000000007AB4: 807C31FF 00000500
	v_mfma_f32_16x16x32_fp8_fp8 v[92:95], a[130:131], a[90:91], v[92:95]// 000000007ABC: D3F3005C 1D72B582
	v_mfma_f32_16x16x32_fp8_fp8 v[92:95], a[132:133], a[92:93], v[92:95]// 000000007AC4: D3F3005C 1D72B984
	buffer_load_dword v65, s[20:23], 0 offen lds               // 000000007ACC: E0511000 80050041
	s_add_u32 m0, 0x600, s49                                   // 000000007AD4: 807C31FF 00000600
	v_mfma_f32_16x16x32_fp8_fp8 v[92:95], a[134:135], a[94:95], v[92:95]// 000000007ADC: D3F3005C 1D72BD86
	v_mfma_f32_16x16x32_fp8_fp8 v[96:99], a[128:129], a[96:97], v[96:99]// 000000007AE4: D3F30060 1D82C180
	v_mfma_f32_16x16x32_fp8_fp8 v[96:99], a[130:131], a[98:99], v[96:99]// 000000007AEC: D3F30060 1D82C582
	v_mfma_f32_16x16x32_fp8_fp8 v[96:99], a[132:133], a[100:101], v[96:99]// 000000007AF4: D3F30060 1D82C984
	v_mfma_f32_16x16x32_fp8_fp8 v[96:99], a[134:135], a[102:103], v[96:99]// 000000007AFC: D3F30060 1D82CD86
	v_mfma_f32_16x16x32_fp8_fp8 v[100:103], a[128:129], a[104:105], v[100:103]// 000000007B04: D3F30064 1D92D180
	buffer_load_dword v66, s[20:23], 0 offen lds               // 000000007B0C: E0511000 80050042
	s_add_u32 m0, 0x700, s49                                   // 000000007B14: 807C31FF 00000700
	v_mfma_f32_16x16x32_fp8_fp8 v[100:103], a[130:131], a[106:107], v[100:103]// 000000007B1C: D3F30064 1D92D582
	v_mfma_f32_16x16x32_fp8_fp8 v[100:103], a[132:133], a[108:109], v[100:103]// 000000007B24: D3F30064 1D92D984
	buffer_load_dword v67, s[20:23], 0 offen lds               // 000000007B2C: E0511000 80050043
	s_add_u32 m0, 0x800, s49                                   // 000000007B34: 807C31FF 00000800
	v_mfma_f32_16x16x32_fp8_fp8 v[100:103], a[134:135], a[110:111], v[100:103]// 000000007B3C: D3F30064 1D92DD86
	v_mfma_f32_16x16x32_fp8_fp8 v[104:107], a[128:129], a[112:113], v[104:107]// 000000007B44: D3F30068 1DA2E180
	v_mfma_f32_16x16x32_fp8_fp8 v[104:107], a[130:131], a[114:115], v[104:107]// 000000007B4C: D3F30068 1DA2E582
	v_mfma_f32_16x16x32_fp8_fp8 v[104:107], a[132:133], a[116:117], v[104:107]// 000000007B54: D3F30068 1DA2E984
	v_mfma_f32_16x16x32_fp8_fp8 v[104:107], a[134:135], a[118:119], v[104:107]// 000000007B5C: D3F30068 1DA2ED86
	v_mfma_f32_16x16x32_fp8_fp8 v[108:111], a[128:129], a[120:121], v[108:111]// 000000007B64: D3F3006C 1DB2F180
	buffer_load_dword v68, s[20:23], 0 offen lds               // 000000007B6C: E0511000 80050044
	s_add_u32 m0, 0x900, s49                                   // 000000007B74: 807C31FF 00000900
	v_mfma_f32_16x16x32_fp8_fp8 v[108:111], a[130:131], a[122:123], v[108:111]// 000000007B7C: D3F3006C 1DB2F582
	s_add_u32 s60, 0x80, s80                                   // 000000007B84: 803C50FF 00000080
	s_cmp_lt_u32 s60, s81                                      // 000000007B8C: BF0A513C
	s_cselect_b32 s83, s83, 0                                  // 000000007B90: 85538053
	v_mfma_f32_16x16x32_fp8_fp8 v[108:111], a[132:133], a[124:125], v[108:111]// 000000007B94: D3F3006C 1DB2F984
	buffer_load_dword v69, s[20:23], 0 offen lds               // 000000007B9C: E0511000 80050045
	s_add_u32 m0, 0xa00, s49                                   // 000000007BA4: 807C31FF 00000A00
	v_mfma_f32_16x16x32_fp8_fp8 v[108:111], a[134:135], a[126:127], v[108:111]// 000000007BAC: D3F3006C 1DB2FD86
	buffer_load_dword v70, s[20:23], 0 offen lds               // 000000007BB4: E0511000 80050046
	s_add_u32 m0, 0xb00, s49                                   // 000000007BBC: 807C31FF 00000B00
	buffer_load_dword v71, s[20:23], 0 offen lds               // 000000007BC4: E0511000 80050047
	s_add_u32 m0, 0xc00, s49                                   // 000000007BCC: 807C31FF 00000C00
	buffer_load_dword v72, s[20:23], 0 offen lds               // 000000007BD4: E0511000 80050048
	s_add_u32 m0, 0xd00, s49                                   // 000000007BDC: 807C31FF 00000D00
	buffer_load_dword v73, s[20:23], 0 offen lds               // 000000007BE4: E0511000 80050049
	s_add_u32 m0, 0xe00, s49                                   // 000000007BEC: 807C31FF 00000E00
	buffer_load_dword v74, s[20:23], 0 offen lds               // 000000007BF4: E0511000 8005004A
	s_add_u32 m0, 0xf00, s49                                   // 000000007BFC: 807C31FF 00000F00
	buffer_load_dword v75, s[20:23], 0 offen lds               // 000000007C04: E0511000 8005004B
	s_add_u32 m0, 0, s48                                       // 000000007C0C: 807C3080
	s_waitcnt vmcnt(16)                                        // 000000007C10: BF8C4F70
	v_mfma_f32_16x16x32_fp8_fp8 v[112:115], a[136:137], a[64:65], v[112:115]// 000000007C14: D3F30070 1DC28188
	buffer_load_dwordx4 a[128:131], v76, s[24:27], 0 offen     // 000000007C1C: E05C1000 8086804C
	v_mfma_f32_16x16x32_fp8_fp8 v[112:115], a[138:139], a[66:67], v[112:115]// 000000007C24: D3F30070 1DC2858A
	v_mfma_f32_16x16x32_fp8_fp8 v[112:115], a[140:141], a[68:69], v[112:115]// 000000007C2C: D3F30070 1DC2898C
	ds_read_b128 a[0:3], v2                                    // 000000007C34: DBFE0000 00000002
	ds_read_b128 a[4:7], v2 offset:64                          // 000000007C3C: DBFE0040 04000002
	v_mfma_f32_16x16x32_fp8_fp8 v[112:115], a[142:143], a[70:71], v[112:115]// 000000007C44: D3F30070 1DC28D8E
	v_mfma_f32_16x16x32_fp8_fp8 v[116:119], a[136:137], a[72:73], v[116:119]// 000000007C4C: D3F30074 1DD29188
	buffer_load_dwordx4 a[132:135], v76, s[24:27], 0 offen offset:1024// 000000007C54: E05C1400 8086844C
	v_mfma_f32_16x16x32_fp8_fp8 v[116:119], a[138:139], a[74:75], v[116:119]// 000000007C5C: D3F30074 1DD2958A
	v_mfma_f32_16x16x32_fp8_fp8 v[116:119], a[140:141], a[76:77], v[116:119]// 000000007C64: D3F30074 1DD2998C
	ds_read_b128 a[8:11], v2 offset:512                        // 000000007C6C: DBFE0200 08000002
	ds_read_b128 a[12:15], v2 offset:576                       // 000000007C74: DBFE0240 0C000002
	v_mfma_f32_16x16x32_fp8_fp8 v[116:119], a[142:143], a[78:79], v[116:119]// 000000007C7C: D3F30074 1DD29D8E
	v_mfma_f32_16x16x32_fp8_fp8 v[120:123], a[136:137], a[80:81], v[120:123]// 000000007C84: D3F30078 1DE2A188
	v_mfma_f32_16x16x32_fp8_fp8 v[120:123], a[138:139], a[82:83], v[120:123]// 000000007C8C: D3F30078 1DE2A58A
	v_mfma_f32_16x16x32_fp8_fp8 v[120:123], a[140:141], a[84:85], v[120:123]// 000000007C94: D3F30078 1DE2A98C
	ds_read_b128 a[16:19], v2 offset:1024                      // 000000007C9C: DBFE0400 10000002
	ds_read_b128 a[20:23], v2 offset:1088                      // 000000007CA4: DBFE0440 14000002
	v_mfma_f32_16x16x32_fp8_fp8 v[120:123], a[142:143], a[86:87], v[120:123]// 000000007CAC: D3F30078 1DE2AD8E
	v_mfma_f32_16x16x32_fp8_fp8 v[124:127], a[136:137], a[88:89], v[124:127]// 000000007CB4: D3F3007C 1DF2B188
	v_mfma_f32_16x16x32_fp8_fp8 v[124:127], a[138:139], a[90:91], v[124:127]// 000000007CBC: D3F3007C 1DF2B58A
	v_mfma_f32_16x16x32_fp8_fp8 v[124:127], a[140:141], a[92:93], v[124:127]// 000000007CC4: D3F3007C 1DF2B98C
	ds_read_b128 a[24:27], v2 offset:1536                      // 000000007CCC: DBFE0600 18000002
	ds_read_b128 a[28:31], v2 offset:1600                      // 000000007CD4: DBFE0640 1C000002
	v_mfma_f32_16x16x32_fp8_fp8 v[124:127], a[142:143], a[94:95], v[124:127]// 000000007CDC: D3F3007C 1DF2BD8E
	v_mfma_f32_16x16x32_fp8_fp8 v[128:131], a[136:137], a[96:97], v[128:131]// 000000007CE4: D3F30080 1E02C188
	v_mfma_f32_16x16x32_fp8_fp8 v[128:131], a[138:139], a[98:99], v[128:131]// 000000007CEC: D3F30080 1E02C58A
	v_mfma_f32_16x16x32_fp8_fp8 v[128:131], a[140:141], a[100:101], v[128:131]// 000000007CF4: D3F30080 1E02C98C
	ds_read_b128 a[32:35], v2 offset:2048                      // 000000007CFC: DBFE0800 20000002
	ds_read_b128 a[36:39], v2 offset:2112                      // 000000007D04: DBFE0840 24000002
	v_mfma_f32_16x16x32_fp8_fp8 v[128:131], a[142:143], a[102:103], v[128:131]// 000000007D0C: D3F30080 1E02CD8E
	v_mfma_f32_16x16x32_fp8_fp8 v[132:135], a[136:137], a[104:105], v[132:135]// 000000007D14: D3F30084 1E12D188
	v_mfma_f32_16x16x32_fp8_fp8 v[132:135], a[138:139], a[106:107], v[132:135]// 000000007D1C: D3F30084 1E12D58A
	v_mfma_f32_16x16x32_fp8_fp8 v[132:135], a[140:141], a[108:109], v[132:135]// 000000007D24: D3F30084 1E12D98C
	ds_read_b128 a[40:43], v2 offset:2560                      // 000000007D2C: DBFE0A00 28000002
	ds_read_b128 a[44:47], v2 offset:2624                      // 000000007D34: DBFE0A40 2C000002
	v_mfma_f32_16x16x32_fp8_fp8 v[132:135], a[142:143], a[110:111], v[132:135]// 000000007D3C: D3F30084 1E12DD8E
	v_mfma_f32_16x16x32_fp8_fp8 v[136:139], a[136:137], a[112:113], v[136:139]// 000000007D44: D3F30088 1E22E188
	v_mfma_f32_16x16x32_fp8_fp8 v[136:139], a[138:139], a[114:115], v[136:139]// 000000007D4C: D3F30088 1E22E58A
	v_mfma_f32_16x16x32_fp8_fp8 v[136:139], a[140:141], a[116:117], v[136:139]// 000000007D54: D3F30088 1E22E98C
	ds_read_b128 a[48:51], v2 offset:3072                      // 000000007D5C: DBFE0C00 30000002
	ds_read_b128 a[52:55], v2 offset:3136                      // 000000007D64: DBFE0C40 34000002
	s_add_u32 s60, 0x180, s80                                  // 000000007D6C: 803C50FF 00000180
	s_cmp_lt_u32 s60, s81                                      // 000000007D74: BF0A513C
	s_cselect_b32 s57, s57, 0                                  // 000000007D78: 85398039
	v_mfma_f32_16x16x32_fp8_fp8 v[136:139], a[142:143], a[118:119], v[136:139]// 000000007D7C: D3F30088 1E22ED8E
	s_add_u32 s60, 0x100, s80                                  // 000000007D84: 803C50FF 00000100
	s_cmp_lt_u32 s60, s81                                      // 000000007D8C: BF0A513C
	s_cselect_b32 s58, s58, 0                                  // 000000007D90: 853A803A
	v_mfma_f32_16x16x32_fp8_fp8 v[140:143], a[136:137], a[120:121], v[140:143]// 000000007D94: D3F3008C 1E32F188
	s_add_u32 s24, s58, s24                                    // 000000007D9C: 8018183A
	s_addc_u32 s25, 0, s25                                     // 000000007DA0: 82191980
	v_mfma_f32_16x16x32_fp8_fp8 v[140:143], a[138:139], a[122:123], v[140:143]// 000000007DA4: D3F3008C 1E32F58A
	s_add_u32 s20, s57, s20                                    // 000000007DAC: 80141439
	s_addc_u32 s21, 0, s21                                     // 000000007DB0: 82151580
	v_mfma_f32_16x16x32_fp8_fp8 v[140:143], a[140:141], a[124:125], v[140:143]// 000000007DB4: D3F3008C 1E32F98C
	ds_read_b128 a[56:59], v2 offset:3584                      // 000000007DBC: DBFE0E00 38000002
	ds_read_b128 a[60:63], v2 offset:3648                      // 000000007DC4: DBFE0E40 3C000002
	s_add_u32 s84, s83, s84                                    // 000000007DCC: 80545453
	s_addc_u32 s85, 0, s85                                     // 000000007DD0: 82555580
	v_mfma_f32_16x16x32_fp8_fp8 v[140:143], a[142:143], a[126:127], v[140:143]// 000000007DD4: D3F3008C 1E32FD8E
	s_addk_i32 s80, 0x80                                       // 000000007DDC: B7500080
	s_cmp_lt_i32 s80, s81                                      // 000000007DE0: BF045150
	s_cbranch_scc0 label_14FE                                  // 000000007DE4: BF840001
	s_branch label_12FF                                        // 000000007DE8: BF82FE01

0000000000007dec <label_14FE>:
	v_mul_f32_dpp v80, v24, v80 row_newbcast:0 row_mask:0xf bank_mask:0xf// 000000007DEC: 0AA0A0FA FF015018
	v_mul_f32_dpp v81, v24, v81 row_newbcast:1 row_mask:0xf bank_mask:0xf// 000000007DF4: 0AA2A2FA FF015118
	v_mul_f32_dpp v82, v24, v82 row_newbcast:2 row_mask:0xf bank_mask:0xf// 000000007DFC: 0AA4A4FA FF015218
	v_mul_f32_dpp v83, v24, v83 row_newbcast:3 row_mask:0xf bank_mask:0xf// 000000007E04: 0AA6A6FA FF015318
	v_mul_f32_dpp v84, v24, v84 row_newbcast:0 row_mask:0xf bank_mask:0xf// 000000007E0C: 0AA8A8FA FF015018
	v_mul_f32_dpp v85, v24, v85 row_newbcast:1 row_mask:0xf bank_mask:0xf// 000000007E14: 0AAAAAFA FF015118
	v_mul_f32_dpp v86, v24, v86 row_newbcast:2 row_mask:0xf bank_mask:0xf// 000000007E1C: 0AACACFA FF015218
	v_mul_f32_dpp v87, v24, v87 row_newbcast:3 row_mask:0xf bank_mask:0xf// 000000007E24: 0AAEAEFA FF015318
	v_mul_f32_dpp v88, v24, v88 row_newbcast:0 row_mask:0xf bank_mask:0xf// 000000007E2C: 0AB0B0FA FF015018
	v_mul_f32_dpp v89, v24, v89 row_newbcast:1 row_mask:0xf bank_mask:0xf// 000000007E34: 0AB2B2FA FF015118
	v_mul_f32_dpp v90, v24, v90 row_newbcast:2 row_mask:0xf bank_mask:0xf// 000000007E3C: 0AB4B4FA FF015218
	v_mul_f32_dpp v91, v24, v91 row_newbcast:3 row_mask:0xf bank_mask:0xf// 000000007E44: 0AB6B6FA FF015318
	v_mul_f32_dpp v92, v24, v92 row_newbcast:0 row_mask:0xf bank_mask:0xf// 000000007E4C: 0AB8B8FA FF015018
	v_mul_f32_dpp v93, v24, v93 row_newbcast:1 row_mask:0xf bank_mask:0xf// 000000007E54: 0ABABAFA FF015118
	v_mul_f32_dpp v94, v24, v94 row_newbcast:2 row_mask:0xf bank_mask:0xf// 000000007E5C: 0ABCBCFA FF015218
	v_mul_f32_dpp v95, v24, v95 row_newbcast:3 row_mask:0xf bank_mask:0xf// 000000007E64: 0ABEBEFA FF015318
	v_mul_f32_dpp v96, v24, v96 row_newbcast:0 row_mask:0xf bank_mask:0xf// 000000007E6C: 0AC0C0FA FF015018
	v_mul_f32_dpp v97, v24, v97 row_newbcast:1 row_mask:0xf bank_mask:0xf// 000000007E74: 0AC2C2FA FF015118
	v_mul_f32_dpp v98, v24, v98 row_newbcast:2 row_mask:0xf bank_mask:0xf// 000000007E7C: 0AC4C4FA FF015218
	v_mul_f32_dpp v99, v24, v99 row_newbcast:3 row_mask:0xf bank_mask:0xf// 000000007E84: 0AC6C6FA FF015318
	v_mul_f32_dpp v100, v24, v100 row_newbcast:0 row_mask:0xf bank_mask:0xf// 000000007E8C: 0AC8C8FA FF015018
	v_mul_f32_dpp v101, v24, v101 row_newbcast:1 row_mask:0xf bank_mask:0xf// 000000007E94: 0ACACAFA FF015118
	v_mul_f32_dpp v102, v24, v102 row_newbcast:2 row_mask:0xf bank_mask:0xf// 000000007E9C: 0ACCCCFA FF015218
	v_mul_f32_dpp v103, v24, v103 row_newbcast:3 row_mask:0xf bank_mask:0xf// 000000007EA4: 0ACECEFA FF015318
	v_mul_f32_dpp v104, v24, v104 row_newbcast:0 row_mask:0xf bank_mask:0xf// 000000007EAC: 0AD0D0FA FF015018
	v_mul_f32_dpp v105, v24, v105 row_newbcast:1 row_mask:0xf bank_mask:0xf// 000000007EB4: 0AD2D2FA FF015118
	v_mul_f32_dpp v106, v24, v106 row_newbcast:2 row_mask:0xf bank_mask:0xf// 000000007EBC: 0AD4D4FA FF015218
	v_mul_f32_dpp v107, v24, v107 row_newbcast:3 row_mask:0xf bank_mask:0xf// 000000007EC4: 0AD6D6FA FF015318
	v_mul_f32_dpp v108, v24, v108 row_newbcast:0 row_mask:0xf bank_mask:0xf// 000000007ECC: 0AD8D8FA FF015018
	v_mul_f32_dpp v109, v24, v109 row_newbcast:1 row_mask:0xf bank_mask:0xf// 000000007ED4: 0ADADAFA FF015118
	v_mul_f32_dpp v110, v24, v110 row_newbcast:2 row_mask:0xf bank_mask:0xf// 000000007EDC: 0ADCDCFA FF015218
	v_mul_f32_dpp v111, v24, v111 row_newbcast:3 row_mask:0xf bank_mask:0xf// 000000007EE4: 0ADEDEFA FF015318
	v_mul_f32_dpp v112, v26, v112 row_newbcast:0 row_mask:0xf bank_mask:0xf// 000000007EEC: 0AE0E0FA FF01501A
	v_mul_f32_dpp v113, v26, v113 row_newbcast:1 row_mask:0xf bank_mask:0xf// 000000007EF4: 0AE2E2FA FF01511A
	v_mul_f32_dpp v114, v26, v114 row_newbcast:2 row_mask:0xf bank_mask:0xf// 000000007EFC: 0AE4E4FA FF01521A
	v_mul_f32_dpp v115, v26, v115 row_newbcast:3 row_mask:0xf bank_mask:0xf// 000000007F04: 0AE6E6FA FF01531A
	v_mul_f32_dpp v116, v26, v116 row_newbcast:0 row_mask:0xf bank_mask:0xf// 000000007F0C: 0AE8E8FA FF01501A
	v_mul_f32_dpp v117, v26, v117 row_newbcast:1 row_mask:0xf bank_mask:0xf// 000000007F14: 0AEAEAFA FF01511A
	v_mul_f32_dpp v118, v26, v118 row_newbcast:2 row_mask:0xf bank_mask:0xf// 000000007F1C: 0AECECFA FF01521A
	v_mul_f32_dpp v119, v26, v119 row_newbcast:3 row_mask:0xf bank_mask:0xf// 000000007F24: 0AEEEEFA FF01531A
	v_mul_f32_dpp v120, v26, v120 row_newbcast:0 row_mask:0xf bank_mask:0xf// 000000007F2C: 0AF0F0FA FF01501A
	v_mul_f32_dpp v121, v26, v121 row_newbcast:1 row_mask:0xf bank_mask:0xf// 000000007F34: 0AF2F2FA FF01511A
	v_mul_f32_dpp v122, v26, v122 row_newbcast:2 row_mask:0xf bank_mask:0xf// 000000007F3C: 0AF4F4FA FF01521A
	v_mul_f32_dpp v123, v26, v123 row_newbcast:3 row_mask:0xf bank_mask:0xf// 000000007F44: 0AF6F6FA FF01531A
	v_mul_f32_dpp v124, v26, v124 row_newbcast:0 row_mask:0xf bank_mask:0xf// 000000007F4C: 0AF8F8FA FF01501A
	v_mul_f32_dpp v125, v26, v125 row_newbcast:1 row_mask:0xf bank_mask:0xf// 000000007F54: 0AFAFAFA FF01511A
	v_mul_f32_dpp v126, v26, v126 row_newbcast:2 row_mask:0xf bank_mask:0xf// 000000007F5C: 0AFCFCFA FF01521A
	v_mul_f32_dpp v127, v26, v127 row_newbcast:3 row_mask:0xf bank_mask:0xf// 000000007F64: 0AFEFEFA FF01531A
	v_mul_f32_dpp v128, v26, v128 row_newbcast:0 row_mask:0xf bank_mask:0xf// 000000007F6C: 0B0100FA FF01501A
	v_mul_f32_dpp v129, v26, v129 row_newbcast:1 row_mask:0xf bank_mask:0xf// 000000007F74: 0B0302FA FF01511A
	v_mul_f32_dpp v130, v26, v130 row_newbcast:2 row_mask:0xf bank_mask:0xf// 000000007F7C: 0B0504FA FF01521A
	v_mul_f32_dpp v131, v26, v131 row_newbcast:3 row_mask:0xf bank_mask:0xf// 000000007F84: 0B0706FA FF01531A
	v_mul_f32_dpp v132, v26, v132 row_newbcast:0 row_mask:0xf bank_mask:0xf// 000000007F8C: 0B0908FA FF01501A
	v_mul_f32_dpp v133, v26, v133 row_newbcast:1 row_mask:0xf bank_mask:0xf// 000000007F94: 0B0B0AFA FF01511A
	v_mul_f32_dpp v134, v26, v134 row_newbcast:2 row_mask:0xf bank_mask:0xf// 000000007F9C: 0B0D0CFA FF01521A
	v_mul_f32_dpp v135, v26, v135 row_newbcast:3 row_mask:0xf bank_mask:0xf// 000000007FA4: 0B0F0EFA FF01531A
	v_mul_f32_dpp v136, v26, v136 row_newbcast:0 row_mask:0xf bank_mask:0xf// 000000007FAC: 0B1110FA FF01501A
	v_mul_f32_dpp v137, v26, v137 row_newbcast:1 row_mask:0xf bank_mask:0xf// 000000007FB4: 0B1312FA FF01511A
	v_mul_f32_dpp v138, v26, v138 row_newbcast:2 row_mask:0xf bank_mask:0xf// 000000007FBC: 0B1514FA FF01521A
	v_mul_f32_dpp v139, v26, v139 row_newbcast:3 row_mask:0xf bank_mask:0xf// 000000007FC4: 0B1716FA FF01531A
	v_mul_f32_dpp v140, v26, v140 row_newbcast:0 row_mask:0xf bank_mask:0xf// 000000007FCC: 0B1918FA FF01501A
	v_mul_f32_dpp v141, v26, v141 row_newbcast:1 row_mask:0xf bank_mask:0xf// 000000007FD4: 0B1B1AFA FF01511A
	v_mul_f32_dpp v142, v26, v142 row_newbcast:2 row_mask:0xf bank_mask:0xf// 000000007FDC: 0B1D1CFA FF01521A
	v_mul_f32_dpp v143, v26, v143 row_newbcast:3 row_mask:0xf bank_mask:0xf// 000000007FE4: 0B1F1EFA FF01531A
	v_mul_f32_e32 v36, v36, v144                               // 000000007FEC: 0A492124
	v_mov_b32_e32 v4, v36                                      // 000000007FF0: 7E080324
	v_mov_b32_e32 v5, v4                                       // 000000007FF4: 7E0A0304
	v_pk_mul_f32 v[80:81], v[4:5], v[80:81]                    // 000000007FF8: D3B14050 1802A104
	v_pk_mul_f32 v[112:113], v[4:5], v[112:113]                // 000000008000: D3B14070 1802E104
	v_pk_mul_f32 v[82:83], v[4:5], v[82:83]                    // 000000008008: D3B14052 1802A504
	v_pk_mul_f32 v[114:115], v[4:5], v[114:115]                // 000000008010: D3B14072 1802E504
	v_mul_f32_e32 v37, v37, v145                               // 000000008018: 0A4B2325
	v_mov_b32_e32 v4, v37                                      // 00000000801C: 7E080325
	v_mov_b32_e32 v5, v4                                       // 000000008020: 7E0A0304
	v_pk_mul_f32 v[84:85], v[4:5], v[84:85]                    // 000000008024: D3B14054 1802A904
	v_pk_mul_f32 v[116:117], v[4:5], v[116:117]                // 00000000802C: D3B14074 1802E904
	v_pk_mul_f32 v[86:87], v[4:5], v[86:87]                    // 000000008034: D3B14056 1802AD04
	v_pk_mul_f32 v[118:119], v[4:5], v[118:119]                // 00000000803C: D3B14076 1802ED04
	v_mul_f32_e32 v38, v38, v146                               // 000000008044: 0A4D2526
	v_mov_b32_e32 v4, v38                                      // 000000008048: 7E080326
	v_mov_b32_e32 v5, v4                                       // 00000000804C: 7E0A0304
	v_pk_mul_f32 v[88:89], v[4:5], v[88:89]                    // 000000008050: D3B14058 1802B104
	v_pk_mul_f32 v[120:121], v[4:5], v[120:121]                // 000000008058: D3B14078 1802F104
	v_pk_mul_f32 v[90:91], v[4:5], v[90:91]                    // 000000008060: D3B1405A 1802B504
	v_pk_mul_f32 v[122:123], v[4:5], v[122:123]                // 000000008068: D3B1407A 1802F504
	v_mul_f32_e32 v39, v39, v147                               // 000000008070: 0A4F2727
	v_mov_b32_e32 v4, v39                                      // 000000008074: 7E080327
	v_mov_b32_e32 v5, v4                                       // 000000008078: 7E0A0304
	v_pk_mul_f32 v[92:93], v[4:5], v[92:93]                    // 00000000807C: D3B1405C 1802B904
	v_pk_mul_f32 v[124:125], v[4:5], v[124:125]                // 000000008084: D3B1407C 1802F904
	v_pk_mul_f32 v[94:95], v[4:5], v[94:95]                    // 00000000808C: D3B1405E 1802BD04
	v_pk_mul_f32 v[126:127], v[4:5], v[126:127]                // 000000008094: D3B1407E 1802FD04
	v_mul_f32_e32 v40, v40, v148                               // 00000000809C: 0A512928
	v_mov_b32_e32 v4, v40                                      // 0000000080A0: 7E080328
	v_mov_b32_e32 v5, v4                                       // 0000000080A4: 7E0A0304
	v_pk_mul_f32 v[96:97], v[4:5], v[96:97]                    // 0000000080A8: D3B14060 1802C104
	v_pk_mul_f32 v[128:129], v[4:5], v[128:129]                // 0000000080B0: D3B14080 18030104
	v_pk_mul_f32 v[98:99], v[4:5], v[98:99]                    // 0000000080B8: D3B14062 1802C504
	v_pk_mul_f32 v[130:131], v[4:5], v[130:131]                // 0000000080C0: D3B14082 18030504
	v_mul_f32_e32 v41, v41, v149                               // 0000000080C8: 0A532B29
	v_mov_b32_e32 v4, v41                                      // 0000000080CC: 7E080329
	v_mov_b32_e32 v5, v4                                       // 0000000080D0: 7E0A0304
	v_pk_mul_f32 v[100:101], v[4:5], v[100:101]                // 0000000080D4: D3B14064 1802C904
	v_pk_mul_f32 v[132:133], v[4:5], v[132:133]                // 0000000080DC: D3B14084 18030904
	v_pk_mul_f32 v[102:103], v[4:5], v[102:103]                // 0000000080E4: D3B14066 1802CD04
	v_pk_mul_f32 v[134:135], v[4:5], v[134:135]                // 0000000080EC: D3B14086 18030D04
	v_mul_f32_e32 v42, v42, v150                               // 0000000080F4: 0A552D2A
	v_mov_b32_e32 v4, v42                                      // 0000000080F8: 7E08032A
	v_mov_b32_e32 v5, v4                                       // 0000000080FC: 7E0A0304
	v_pk_mul_f32 v[104:105], v[4:5], v[104:105]                // 000000008100: D3B14068 1802D104
	v_pk_mul_f32 v[136:137], v[4:5], v[136:137]                // 000000008108: D3B14088 18031104
	v_pk_mul_f32 v[106:107], v[4:5], v[106:107]                // 000000008110: D3B1406A 1802D504
	v_pk_mul_f32 v[138:139], v[4:5], v[138:139]                // 000000008118: D3B1408A 18031504
	v_mul_f32_e32 v43, v43, v151                               // 000000008120: 0A572F2B
	v_mov_b32_e32 v4, v43                                      // 000000008124: 7E08032B
	v_mov_b32_e32 v5, v4                                       // 000000008128: 7E0A0304
	v_pk_mul_f32 v[108:109], v[4:5], v[108:109]                // 00000000812C: D3B1406C 1802D904
	v_pk_mul_f32 v[140:141], v[4:5], v[140:141]                // 000000008134: D3B1408C 18031904
	v_pk_mul_f32 v[110:111], v[4:5], v[110:111]                // 00000000813C: D3B1406E 1802DD04
	v_pk_mul_f32 v[142:143], v[4:5], v[142:143]                // 000000008144: D3B1408E 18031D04
	s_cmp_eq_u32 s88, 0                                        // 00000000814C: BF068058
	s_cbranch_scc0 label_1BC9                                  // 000000008150: BF8405F1
	s_cmp_eq_u32 s89, 0                                        // 000000008154: BF068059
	s_cbranch_scc1 label_171F                                  // 000000008158: BF850145
	v_mov_b32_e32 v8, v1                                       // 00000000815C: 7E100301
	v_mov_b32_e32 v9, v1                                       // 000000008160: 7E120301
	s_mov_b32 s60, s6                                          // 000000008164: BEBC0006
	s_mov_b32 s61, s6                                          // 000000008168: BEBD0006
	v_pk_mul_f32 v[4:5], v[80:81], v[80:81]                    // 00000000816C: D3B14004 1802A150
	v_pk_mul_f32 v[6:7], v[82:83], v[82:83]                    // 000000008174: D3B14006 1802A552
	v_pk_fma_f32 v[4:5], v[4:5], s[78:79], v[8:9]              // 00000000817C: D3B04004 1C209D04
	v_pk_fma_f32 v[6:7], v[6:7], s[78:79], v[8:9]              // 000000008184: D3B04006 1C209D06
	v_pk_mul_f32 v[4:5], v[4:5], v[80:81]                      // 00000000818C: D3B14004 1802A104
	v_pk_mul_f32 v[6:7], v[6:7], v[82:83]                      // 000000008194: D3B14006 1802A506
	v_pk_mul_f32 v[4:5], v[4:5], s[60:61]                      // 00000000819C: D3B14004 18007904
	v_pk_mul_f32 v[6:7], v[6:7], s[60:61]                      // 0000000081A4: D3B14006 18007906
	v_exp_f32_e32 v4, v4                                       // 0000000081AC: 7E084104
	v_exp_f32_e32 v5, v5                                       // 0000000081B0: 7E0A4105
	v_exp_f32_e32 v6, v6                                       // 0000000081B4: 7E0C4106
	v_exp_f32_e32 v7, v7                                       // 0000000081B8: 7E0E4107
	v_add_f32_e64 v4, v4, 1.0                                  // 0000000081BC: D1010004 0001E504
	v_add_f32_e64 v5, v5, 1.0                                  // 0000000081C4: D1010005 0001E505
	v_add_f32_e64 v6, v6, 1.0                                  // 0000000081CC: D1010006 0001E506
	v_add_f32_e64 v7, v7, 1.0                                  // 0000000081D4: D1010007 0001E507
	v_rcp_f32_e32 v4, v4                                       // 0000000081DC: 7E084504
	v_rcp_f32_e32 v5, v5                                       // 0000000081E0: 7E0A4505
	v_rcp_f32_e32 v6, v6                                       // 0000000081E4: 7E0C4506
	v_rcp_f32_e32 v7, v7                                       // 0000000081E8: 7E0E4507
	v_mul_f32_e32 v80, v80, v4                                 // 0000000081EC: 0AA00950
	v_mul_f32_e32 v81, v81, v5                                 // 0000000081F0: 0AA20B51
	v_mul_f32_e32 v82, v82, v6                                 // 0000000081F4: 0AA40D52
	v_mul_f32_e32 v83, v83, v7                                 // 0000000081F8: 0AA60F53
	v_mul_f32_e32 v80, v80, v112                               // 0000000081FC: 0AA0E150
	v_mul_f32_e32 v81, v81, v113                               // 000000008200: 0AA2E351
	v_mul_f32_e32 v82, v82, v114                               // 000000008204: 0AA4E552
	v_mul_f32_e32 v83, v83, v115                               // 000000008208: 0AA6E753
	v_pk_mul_f32 v[4:5], v[84:85], v[84:85]                    // 00000000820C: D3B14004 1802A954
	v_pk_mul_f32 v[6:7], v[86:87], v[86:87]                    // 000000008214: D3B14006 1802AD56
	v_pk_fma_f32 v[4:5], v[4:5], s[78:79], v[8:9]              // 00000000821C: D3B04004 1C209D04
	v_pk_fma_f32 v[6:7], v[6:7], s[78:79], v[8:9]              // 000000008224: D3B04006 1C209D06
	v_pk_mul_f32 v[4:5], v[4:5], v[84:85]                      // 00000000822C: D3B14004 1802A904
	v_pk_mul_f32 v[6:7], v[6:7], v[86:87]                      // 000000008234: D3B14006 1802AD06
	v_pk_mul_f32 v[4:5], v[4:5], s[60:61]                      // 00000000823C: D3B14004 18007904
	v_pk_mul_f32 v[6:7], v[6:7], s[60:61]                      // 000000008244: D3B14006 18007906
	v_exp_f32_e32 v4, v4                                       // 00000000824C: 7E084104
	v_exp_f32_e32 v5, v5                                       // 000000008250: 7E0A4105
	v_exp_f32_e32 v6, v6                                       // 000000008254: 7E0C4106
	v_exp_f32_e32 v7, v7                                       // 000000008258: 7E0E4107
	v_add_f32_e64 v4, v4, 1.0                                  // 00000000825C: D1010004 0001E504
	v_add_f32_e64 v5, v5, 1.0                                  // 000000008264: D1010005 0001E505
	v_add_f32_e64 v6, v6, 1.0                                  // 00000000826C: D1010006 0001E506
	v_add_f32_e64 v7, v7, 1.0                                  // 000000008274: D1010007 0001E507
	v_rcp_f32_e32 v4, v4                                       // 00000000827C: 7E084504
	v_rcp_f32_e32 v5, v5                                       // 000000008280: 7E0A4505
	v_rcp_f32_e32 v6, v6                                       // 000000008284: 7E0C4506
	v_rcp_f32_e32 v7, v7                                       // 000000008288: 7E0E4507
	v_mul_f32_e32 v84, v84, v4                                 // 00000000828C: 0AA80954
	v_mul_f32_e32 v85, v85, v5                                 // 000000008290: 0AAA0B55
	v_mul_f32_e32 v86, v86, v6                                 // 000000008294: 0AAC0D56
	v_mul_f32_e32 v87, v87, v7                                 // 000000008298: 0AAE0F57
	v_mul_f32_e32 v84, v84, v116                               // 00000000829C: 0AA8E954
	v_mul_f32_e32 v85, v85, v117                               // 0000000082A0: 0AAAEB55
	v_mul_f32_e32 v86, v86, v118                               // 0000000082A4: 0AACED56
	v_mul_f32_e32 v87, v87, v119                               // 0000000082A8: 0AAEEF57
	v_pk_mul_f32 v[4:5], v[88:89], v[88:89]                    // 0000000082AC: D3B14004 1802B158
	v_pk_mul_f32 v[6:7], v[90:91], v[90:91]                    // 0000000082B4: D3B14006 1802B55A
	v_pk_fma_f32 v[4:5], v[4:5], s[78:79], v[8:9]              // 0000000082BC: D3B04004 1C209D04
	v_pk_fma_f32 v[6:7], v[6:7], s[78:79], v[8:9]              // 0000000082C4: D3B04006 1C209D06
	v_pk_mul_f32 v[4:5], v[4:5], v[88:89]                      // 0000000082CC: D3B14004 1802B104
	v_pk_mul_f32 v[6:7], v[6:7], v[90:91]                      // 0000000082D4: D3B14006 1802B506
	v_pk_mul_f32 v[4:5], v[4:5], s[60:61]                      // 0000000082DC: D3B14004 18007904
	v_pk_mul_f32 v[6:7], v[6:7], s[60:61]                      // 0000000082E4: D3B14006 18007906
	v_exp_f32_e32 v4, v4                                       // 0000000082EC: 7E084104
	v_exp_f32_e32 v5, v5                                       // 0000000082F0: 7E0A4105
	v_exp_f32_e32 v6, v6                                       // 0000000082F4: 7E0C4106
	v_exp_f32_e32 v7, v7                                       // 0000000082F8: 7E0E4107
	v_add_f32_e64 v4, v4, 1.0                                  // 0000000082FC: D1010004 0001E504
	v_add_f32_e64 v5, v5, 1.0                                  // 000000008304: D1010005 0001E505
	v_add_f32_e64 v6, v6, 1.0                                  // 00000000830C: D1010006 0001E506
	v_add_f32_e64 v7, v7, 1.0                                  // 000000008314: D1010007 0001E507
	v_rcp_f32_e32 v4, v4                                       // 00000000831C: 7E084504
	v_rcp_f32_e32 v5, v5                                       // 000000008320: 7E0A4505
	v_rcp_f32_e32 v6, v6                                       // 000000008324: 7E0C4506
	v_rcp_f32_e32 v7, v7                                       // 000000008328: 7E0E4507
	v_mul_f32_e32 v88, v88, v4                                 // 00000000832C: 0AB00958
	v_mul_f32_e32 v89, v89, v5                                 // 000000008330: 0AB20B59
	v_mul_f32_e32 v90, v90, v6                                 // 000000008334: 0AB40D5A
	v_mul_f32_e32 v91, v91, v7                                 // 000000008338: 0AB60F5B
	v_mul_f32_e32 v88, v88, v120                               // 00000000833C: 0AB0F158
	v_mul_f32_e32 v89, v89, v121                               // 000000008340: 0AB2F359
	v_mul_f32_e32 v90, v90, v122                               // 000000008344: 0AB4F55A
	v_mul_f32_e32 v91, v91, v123                               // 000000008348: 0AB6F75B
	v_pk_mul_f32 v[4:5], v[92:93], v[92:93]                    // 00000000834C: D3B14004 1802B95C
	v_pk_mul_f32 v[6:7], v[94:95], v[94:95]                    // 000000008354: D3B14006 1802BD5E
	v_pk_fma_f32 v[4:5], v[4:5], s[78:79], v[8:9]              // 00000000835C: D3B04004 1C209D04
	v_pk_fma_f32 v[6:7], v[6:7], s[78:79], v[8:9]              // 000000008364: D3B04006 1C209D06
	v_pk_mul_f32 v[4:5], v[4:5], v[92:93]                      // 00000000836C: D3B14004 1802B904
	v_pk_mul_f32 v[6:7], v[6:7], v[94:95]                      // 000000008374: D3B14006 1802BD06
	v_pk_mul_f32 v[4:5], v[4:5], s[60:61]                      // 00000000837C: D3B14004 18007904
	v_pk_mul_f32 v[6:7], v[6:7], s[60:61]                      // 000000008384: D3B14006 18007906
	v_exp_f32_e32 v4, v4                                       // 00000000838C: 7E084104
	v_exp_f32_e32 v5, v5                                       // 000000008390: 7E0A4105
	v_exp_f32_e32 v6, v6                                       // 000000008394: 7E0C4106
	v_exp_f32_e32 v7, v7                                       // 000000008398: 7E0E4107
	v_add_f32_e64 v4, v4, 1.0                                  // 00000000839C: D1010004 0001E504
	v_add_f32_e64 v5, v5, 1.0                                  // 0000000083A4: D1010005 0001E505
	v_add_f32_e64 v6, v6, 1.0                                  // 0000000083AC: D1010006 0001E506
	v_add_f32_e64 v7, v7, 1.0                                  // 0000000083B4: D1010007 0001E507
	v_rcp_f32_e32 v4, v4                                       // 0000000083BC: 7E084504
	v_rcp_f32_e32 v5, v5                                       // 0000000083C0: 7E0A4505
	v_rcp_f32_e32 v6, v6                                       // 0000000083C4: 7E0C4506
	v_rcp_f32_e32 v7, v7                                       // 0000000083C8: 7E0E4507
	v_mul_f32_e32 v92, v92, v4                                 // 0000000083CC: 0AB8095C
	v_mul_f32_e32 v93, v93, v5                                 // 0000000083D0: 0ABA0B5D
	v_mul_f32_e32 v94, v94, v6                                 // 0000000083D4: 0ABC0D5E
	v_mul_f32_e32 v95, v95, v7                                 // 0000000083D8: 0ABE0F5F
	v_mul_f32_e32 v92, v92, v124                               // 0000000083DC: 0AB8F95C
	v_mul_f32_e32 v93, v93, v125                               // 0000000083E0: 0ABAFB5D
	v_mul_f32_e32 v94, v94, v126                               // 0000000083E4: 0ABCFD5E
	v_mul_f32_e32 v95, v95, v127                               // 0000000083E8: 0ABEFF5F
	v_pk_mul_f32 v[4:5], v[96:97], v[96:97]                    // 0000000083EC: D3B14004 1802C160
	v_pk_mul_f32 v[6:7], v[98:99], v[98:99]                    // 0000000083F4: D3B14006 1802C562
	v_pk_fma_f32 v[4:5], v[4:5], s[78:79], v[8:9]              // 0000000083FC: D3B04004 1C209D04
	v_pk_fma_f32 v[6:7], v[6:7], s[78:79], v[8:9]              // 000000008404: D3B04006 1C209D06
	v_pk_mul_f32 v[4:5], v[4:5], v[96:97]                      // 00000000840C: D3B14004 1802C104
	v_pk_mul_f32 v[6:7], v[6:7], v[98:99]                      // 000000008414: D3B14006 1802C506
	v_pk_mul_f32 v[4:5], v[4:5], s[60:61]                      // 00000000841C: D3B14004 18007904
	v_pk_mul_f32 v[6:7], v[6:7], s[60:61]                      // 000000008424: D3B14006 18007906
	v_exp_f32_e32 v4, v4                                       // 00000000842C: 7E084104
	v_exp_f32_e32 v5, v5                                       // 000000008430: 7E0A4105
	v_exp_f32_e32 v6, v6                                       // 000000008434: 7E0C4106
	v_exp_f32_e32 v7, v7                                       // 000000008438: 7E0E4107
	v_add_f32_e64 v4, v4, 1.0                                  // 00000000843C: D1010004 0001E504
	v_add_f32_e64 v5, v5, 1.0                                  // 000000008444: D1010005 0001E505
	v_add_f32_e64 v6, v6, 1.0                                  // 00000000844C: D1010006 0001E506
	v_add_f32_e64 v7, v7, 1.0                                  // 000000008454: D1010007 0001E507
	v_rcp_f32_e32 v4, v4                                       // 00000000845C: 7E084504
	v_rcp_f32_e32 v5, v5                                       // 000000008460: 7E0A4505
	v_rcp_f32_e32 v6, v6                                       // 000000008464: 7E0C4506
	v_rcp_f32_e32 v7, v7                                       // 000000008468: 7E0E4507
	v_mul_f32_e32 v96, v96, v4                                 // 00000000846C: 0AC00960
	v_mul_f32_e32 v97, v97, v5                                 // 000000008470: 0AC20B61
	v_mul_f32_e32 v98, v98, v6                                 // 000000008474: 0AC40D62
	v_mul_f32_e32 v99, v99, v7                                 // 000000008478: 0AC60F63
	v_mul_f32_e32 v96, v96, v128                               // 00000000847C: 0AC10160
	v_mul_f32_e32 v97, v97, v129                               // 000000008480: 0AC30361
	v_mul_f32_e32 v98, v98, v130                               // 000000008484: 0AC50562
	v_mul_f32_e32 v99, v99, v131                               // 000000008488: 0AC70763
	v_pk_mul_f32 v[4:5], v[100:101], v[100:101]                // 00000000848C: D3B14004 1802C964
	v_pk_mul_f32 v[6:7], v[102:103], v[102:103]                // 000000008494: D3B14006 1802CD66
	v_pk_fma_f32 v[4:5], v[4:5], s[78:79], v[8:9]              // 00000000849C: D3B04004 1C209D04
	v_pk_fma_f32 v[6:7], v[6:7], s[78:79], v[8:9]              // 0000000084A4: D3B04006 1C209D06
	v_pk_mul_f32 v[4:5], v[4:5], v[100:101]                    // 0000000084AC: D3B14004 1802C904
	v_pk_mul_f32 v[6:7], v[6:7], v[102:103]                    // 0000000084B4: D3B14006 1802CD06
	v_pk_mul_f32 v[4:5], v[4:5], s[60:61]                      // 0000000084BC: D3B14004 18007904
	v_pk_mul_f32 v[6:7], v[6:7], s[60:61]                      // 0000000084C4: D3B14006 18007906
	v_exp_f32_e32 v4, v4                                       // 0000000084CC: 7E084104
	v_exp_f32_e32 v5, v5                                       // 0000000084D0: 7E0A4105
	v_exp_f32_e32 v6, v6                                       // 0000000084D4: 7E0C4106
	v_exp_f32_e32 v7, v7                                       // 0000000084D8: 7E0E4107
	v_add_f32_e64 v4, v4, 1.0                                  // 0000000084DC: D1010004 0001E504
	v_add_f32_e64 v5, v5, 1.0                                  // 0000000084E4: D1010005 0001E505
	v_add_f32_e64 v6, v6, 1.0                                  // 0000000084EC: D1010006 0001E506
	v_add_f32_e64 v7, v7, 1.0                                  // 0000000084F4: D1010007 0001E507
	v_rcp_f32_e32 v4, v4                                       // 0000000084FC: 7E084504
	v_rcp_f32_e32 v5, v5                                       // 000000008500: 7E0A4505
	v_rcp_f32_e32 v6, v6                                       // 000000008504: 7E0C4506
	v_rcp_f32_e32 v7, v7                                       // 000000008508: 7E0E4507
	v_mul_f32_e32 v100, v100, v4                               // 00000000850C: 0AC80964
	v_mul_f32_e32 v101, v101, v5                               // 000000008510: 0ACA0B65
	v_mul_f32_e32 v102, v102, v6                               // 000000008514: 0ACC0D66
	v_mul_f32_e32 v103, v103, v7                               // 000000008518: 0ACE0F67
	v_mul_f32_e32 v100, v100, v132                             // 00000000851C: 0AC90964
	v_mul_f32_e32 v101, v101, v133                             // 000000008520: 0ACB0B65
	v_mul_f32_e32 v102, v102, v134                             // 000000008524: 0ACD0D66
	v_mul_f32_e32 v103, v103, v135                             // 000000008528: 0ACF0F67
	v_pk_mul_f32 v[4:5], v[104:105], v[104:105]                // 00000000852C: D3B14004 1802D168
	v_pk_mul_f32 v[6:7], v[106:107], v[106:107]                // 000000008534: D3B14006 1802D56A
	v_pk_fma_f32 v[4:5], v[4:5], s[78:79], v[8:9]              // 00000000853C: D3B04004 1C209D04
	v_pk_fma_f32 v[6:7], v[6:7], s[78:79], v[8:9]              // 000000008544: D3B04006 1C209D06
	v_pk_mul_f32 v[4:5], v[4:5], v[104:105]                    // 00000000854C: D3B14004 1802D104
	v_pk_mul_f32 v[6:7], v[6:7], v[106:107]                    // 000000008554: D3B14006 1802D506
	v_pk_mul_f32 v[4:5], v[4:5], s[60:61]                      // 00000000855C: D3B14004 18007904
	v_pk_mul_f32 v[6:7], v[6:7], s[60:61]                      // 000000008564: D3B14006 18007906
	v_exp_f32_e32 v4, v4                                       // 00000000856C: 7E084104
	v_exp_f32_e32 v5, v5                                       // 000000008570: 7E0A4105
	v_exp_f32_e32 v6, v6                                       // 000000008574: 7E0C4106
	v_exp_f32_e32 v7, v7                                       // 000000008578: 7E0E4107
	v_add_f32_e64 v4, v4, 1.0                                  // 00000000857C: D1010004 0001E504
	v_add_f32_e64 v5, v5, 1.0                                  // 000000008584: D1010005 0001E505
	v_add_f32_e64 v6, v6, 1.0                                  // 00000000858C: D1010006 0001E506
	v_add_f32_e64 v7, v7, 1.0                                  // 000000008594: D1010007 0001E507
	v_rcp_f32_e32 v4, v4                                       // 00000000859C: 7E084504
	v_rcp_f32_e32 v5, v5                                       // 0000000085A0: 7E0A4505
	v_rcp_f32_e32 v6, v6                                       // 0000000085A4: 7E0C4506
	v_rcp_f32_e32 v7, v7                                       // 0000000085A8: 7E0E4507
	v_mul_f32_e32 v104, v104, v4                               // 0000000085AC: 0AD00968
	v_mul_f32_e32 v105, v105, v5                               // 0000000085B0: 0AD20B69
	v_mul_f32_e32 v106, v106, v6                               // 0000000085B4: 0AD40D6A
	v_mul_f32_e32 v107, v107, v7                               // 0000000085B8: 0AD60F6B
	v_mul_f32_e32 v104, v104, v136                             // 0000000085BC: 0AD11168
	v_mul_f32_e32 v105, v105, v137                             // 0000000085C0: 0AD31369
	v_mul_f32_e32 v106, v106, v138                             // 0000000085C4: 0AD5156A
	v_mul_f32_e32 v107, v107, v139                             // 0000000085C8: 0AD7176B
	v_pk_mul_f32 v[4:5], v[108:109], v[108:109]                // 0000000085CC: D3B14004 1802D96C
	v_pk_mul_f32 v[6:7], v[110:111], v[110:111]                // 0000000085D4: D3B14006 1802DD6E
	v_pk_fma_f32 v[4:5], v[4:5], s[78:79], v[8:9]              // 0000000085DC: D3B04004 1C209D04
	v_pk_fma_f32 v[6:7], v[6:7], s[78:79], v[8:9]              // 0000000085E4: D3B04006 1C209D06
	v_pk_mul_f32 v[4:5], v[4:5], v[108:109]                    // 0000000085EC: D3B14004 1802D904
	v_pk_mul_f32 v[6:7], v[6:7], v[110:111]                    // 0000000085F4: D3B14006 1802DD06
	v_pk_mul_f32 v[4:5], v[4:5], s[60:61]                      // 0000000085FC: D3B14004 18007904
	v_pk_mul_f32 v[6:7], v[6:7], s[60:61]                      // 000000008604: D3B14006 18007906
	v_exp_f32_e32 v4, v4                                       // 00000000860C: 7E084104
	v_exp_f32_e32 v5, v5                                       // 000000008610: 7E0A4105
	v_exp_f32_e32 v6, v6                                       // 000000008614: 7E0C4106
	v_exp_f32_e32 v7, v7                                       // 000000008618: 7E0E4107
	v_add_f32_e64 v4, v4, 1.0                                  // 00000000861C: D1010004 0001E504
	v_add_f32_e64 v5, v5, 1.0                                  // 000000008624: D1010005 0001E505
	v_add_f32_e64 v6, v6, 1.0                                  // 00000000862C: D1010006 0001E506
	v_add_f32_e64 v7, v7, 1.0                                  // 000000008634: D1010007 0001E507
	v_rcp_f32_e32 v4, v4                                       // 00000000863C: 7E084504
	v_rcp_f32_e32 v5, v5                                       // 000000008640: 7E0A4505
	v_rcp_f32_e32 v6, v6                                       // 000000008644: 7E0C4506
	v_rcp_f32_e32 v7, v7                                       // 000000008648: 7E0E4507
	v_mul_f32_e32 v108, v108, v4                               // 00000000864C: 0AD8096C
	v_mul_f32_e32 v109, v109, v5                               // 000000008650: 0ADA0B6D
	v_mul_f32_e32 v110, v110, v6                               // 000000008654: 0ADC0D6E
	v_mul_f32_e32 v111, v111, v7                               // 000000008658: 0ADE0F6F
	v_mul_f32_e32 v108, v108, v140                             // 00000000865C: 0AD9196C
	v_mul_f32_e32 v109, v109, v141                             // 000000008660: 0ADB1B6D
	v_mul_f32_e32 v110, v110, v142                             // 000000008664: 0ADD1D6E
	v_mul_f32_e32 v111, v111, v143                             // 000000008668: 0ADF1F6F
	s_branch label_181F                                        // 00000000866C: BF820100

0000000000008670 <label_171F>:
	v_mul_f32_e64 v4, -v80, s6                                 // 000000008670: D1050004 20000D50
	v_mul_f32_e64 v5, -v81, s6                                 // 000000008678: D1050005 20000D51
	v_mul_f32_e64 v6, -v82, s6                                 // 000000008680: D1050006 20000D52
	v_mul_f32_e64 v7, -v83, s6                                 // 000000008688: D1050007 20000D53
	v_exp_f32_e32 v4, v4                                       // 000000008690: 7E084104
	v_exp_f32_e32 v5, v5                                       // 000000008694: 7E0A4105
	v_exp_f32_e32 v6, v6                                       // 000000008698: 7E0C4106
	v_exp_f32_e32 v7, v7                                       // 00000000869C: 7E0E4107
	v_add_f32_e64 v4, v4, 1.0                                  // 0000000086A0: D1010004 0001E504
	v_add_f32_e64 v5, v5, 1.0                                  // 0000000086A8: D1010005 0001E505
	v_add_f32_e64 v6, v6, 1.0                                  // 0000000086B0: D1010006 0001E506
	v_add_f32_e64 v7, v7, 1.0                                  // 0000000086B8: D1010007 0001E507
	v_rcp_f32_e32 v4, v4                                       // 0000000086C0: 7E084504
	v_rcp_f32_e32 v5, v5                                       // 0000000086C4: 7E0A4505
	v_rcp_f32_e32 v6, v6                                       // 0000000086C8: 7E0C4506
	v_rcp_f32_e32 v7, v7                                       // 0000000086CC: 7E0E4507
	v_mul_f32_e32 v80, v80, v4                                 // 0000000086D0: 0AA00950
	v_mul_f32_e32 v81, v81, v5                                 // 0000000086D4: 0AA20B51
	v_mul_f32_e32 v82, v82, v6                                 // 0000000086D8: 0AA40D52
	v_mul_f32_e32 v83, v83, v7                                 // 0000000086DC: 0AA60F53
	v_mul_f32_e32 v80, v80, v112                               // 0000000086E0: 0AA0E150
	v_mul_f32_e32 v81, v81, v113                               // 0000000086E4: 0AA2E351
	v_mul_f32_e32 v82, v82, v114                               // 0000000086E8: 0AA4E552
	v_mul_f32_e32 v83, v83, v115                               // 0000000086EC: 0AA6E753
	v_mul_f32_e64 v4, -v84, s6                                 // 0000000086F0: D1050004 20000D54
	v_mul_f32_e64 v5, -v85, s6                                 // 0000000086F8: D1050005 20000D55
	v_mul_f32_e64 v6, -v86, s6                                 // 000000008700: D1050006 20000D56
	v_mul_f32_e64 v7, -v87, s6                                 // 000000008708: D1050007 20000D57
	v_exp_f32_e32 v4, v4                                       // 000000008710: 7E084104
	v_exp_f32_e32 v5, v5                                       // 000000008714: 7E0A4105
	v_exp_f32_e32 v6, v6                                       // 000000008718: 7E0C4106
	v_exp_f32_e32 v7, v7                                       // 00000000871C: 7E0E4107
	v_add_f32_e64 v4, v4, 1.0                                  // 000000008720: D1010004 0001E504
	v_add_f32_e64 v5, v5, 1.0                                  // 000000008728: D1010005 0001E505
	v_add_f32_e64 v6, v6, 1.0                                  // 000000008730: D1010006 0001E506
	v_add_f32_e64 v7, v7, 1.0                                  // 000000008738: D1010007 0001E507
	v_rcp_f32_e32 v4, v4                                       // 000000008740: 7E084504
	v_rcp_f32_e32 v5, v5                                       // 000000008744: 7E0A4505
	v_rcp_f32_e32 v6, v6                                       // 000000008748: 7E0C4506
	v_rcp_f32_e32 v7, v7                                       // 00000000874C: 7E0E4507
	v_mul_f32_e32 v84, v84, v4                                 // 000000008750: 0AA80954
	v_mul_f32_e32 v85, v85, v5                                 // 000000008754: 0AAA0B55
	v_mul_f32_e32 v86, v86, v6                                 // 000000008758: 0AAC0D56
	v_mul_f32_e32 v87, v87, v7                                 // 00000000875C: 0AAE0F57
	v_mul_f32_e32 v84, v84, v116                               // 000000008760: 0AA8E954
	v_mul_f32_e32 v85, v85, v117                               // 000000008764: 0AAAEB55
	v_mul_f32_e32 v86, v86, v118                               // 000000008768: 0AACED56
	v_mul_f32_e32 v87, v87, v119                               // 00000000876C: 0AAEEF57
	v_mul_f32_e64 v4, -v88, s6                                 // 000000008770: D1050004 20000D58
	v_mul_f32_e64 v5, -v89, s6                                 // 000000008778: D1050005 20000D59
	v_mul_f32_e64 v6, -v90, s6                                 // 000000008780: D1050006 20000D5A
	v_mul_f32_e64 v7, -v91, s6                                 // 000000008788: D1050007 20000D5B
	v_exp_f32_e32 v4, v4                                       // 000000008790: 7E084104
	v_exp_f32_e32 v5, v5                                       // 000000008794: 7E0A4105
	v_exp_f32_e32 v6, v6                                       // 000000008798: 7E0C4106
	v_exp_f32_e32 v7, v7                                       // 00000000879C: 7E0E4107
	v_add_f32_e64 v4, v4, 1.0                                  // 0000000087A0: D1010004 0001E504
	v_add_f32_e64 v5, v5, 1.0                                  // 0000000087A8: D1010005 0001E505
	v_add_f32_e64 v6, v6, 1.0                                  // 0000000087B0: D1010006 0001E506
	v_add_f32_e64 v7, v7, 1.0                                  // 0000000087B8: D1010007 0001E507
	v_rcp_f32_e32 v4, v4                                       // 0000000087C0: 7E084504
	v_rcp_f32_e32 v5, v5                                       // 0000000087C4: 7E0A4505
	v_rcp_f32_e32 v6, v6                                       // 0000000087C8: 7E0C4506
	v_rcp_f32_e32 v7, v7                                       // 0000000087CC: 7E0E4507
	v_mul_f32_e32 v88, v88, v4                                 // 0000000087D0: 0AB00958
	v_mul_f32_e32 v89, v89, v5                                 // 0000000087D4: 0AB20B59
	v_mul_f32_e32 v90, v90, v6                                 // 0000000087D8: 0AB40D5A
	v_mul_f32_e32 v91, v91, v7                                 // 0000000087DC: 0AB60F5B
	v_mul_f32_e32 v88, v88, v120                               // 0000000087E0: 0AB0F158
	v_mul_f32_e32 v89, v89, v121                               // 0000000087E4: 0AB2F359
	v_mul_f32_e32 v90, v90, v122                               // 0000000087E8: 0AB4F55A
	v_mul_f32_e32 v91, v91, v123                               // 0000000087EC: 0AB6F75B
	v_mul_f32_e64 v4, -v92, s6                                 // 0000000087F0: D1050004 20000D5C
	v_mul_f32_e64 v5, -v93, s6                                 // 0000000087F8: D1050005 20000D5D
	v_mul_f32_e64 v6, -v94, s6                                 // 000000008800: D1050006 20000D5E
	v_mul_f32_e64 v7, -v95, s6                                 // 000000008808: D1050007 20000D5F
	v_exp_f32_e32 v4, v4                                       // 000000008810: 7E084104
	v_exp_f32_e32 v5, v5                                       // 000000008814: 7E0A4105
	v_exp_f32_e32 v6, v6                                       // 000000008818: 7E0C4106
	v_exp_f32_e32 v7, v7                                       // 00000000881C: 7E0E4107
	v_add_f32_e64 v4, v4, 1.0                                  // 000000008820: D1010004 0001E504
	v_add_f32_e64 v5, v5, 1.0                                  // 000000008828: D1010005 0001E505
	v_add_f32_e64 v6, v6, 1.0                                  // 000000008830: D1010006 0001E506
	v_add_f32_e64 v7, v7, 1.0                                  // 000000008838: D1010007 0001E507
	v_rcp_f32_e32 v4, v4                                       // 000000008840: 7E084504
	v_rcp_f32_e32 v5, v5                                       // 000000008844: 7E0A4505
	v_rcp_f32_e32 v6, v6                                       // 000000008848: 7E0C4506
	v_rcp_f32_e32 v7, v7                                       // 00000000884C: 7E0E4507
	v_mul_f32_e32 v92, v92, v4                                 // 000000008850: 0AB8095C
	v_mul_f32_e32 v93, v93, v5                                 // 000000008854: 0ABA0B5D
	v_mul_f32_e32 v94, v94, v6                                 // 000000008858: 0ABC0D5E
	v_mul_f32_e32 v95, v95, v7                                 // 00000000885C: 0ABE0F5F
	v_mul_f32_e32 v92, v92, v124                               // 000000008860: 0AB8F95C
	v_mul_f32_e32 v93, v93, v125                               // 000000008864: 0ABAFB5D
	v_mul_f32_e32 v94, v94, v126                               // 000000008868: 0ABCFD5E
	v_mul_f32_e32 v95, v95, v127                               // 00000000886C: 0ABEFF5F
	v_mul_f32_e64 v4, -v96, s6                                 // 000000008870: D1050004 20000D60
	v_mul_f32_e64 v5, -v97, s6                                 // 000000008878: D1050005 20000D61
	v_mul_f32_e64 v6, -v98, s6                                 // 000000008880: D1050006 20000D62
	v_mul_f32_e64 v7, -v99, s6                                 // 000000008888: D1050007 20000D63
	v_exp_f32_e32 v4, v4                                       // 000000008890: 7E084104
	v_exp_f32_e32 v5, v5                                       // 000000008894: 7E0A4105
	v_exp_f32_e32 v6, v6                                       // 000000008898: 7E0C4106
	v_exp_f32_e32 v7, v7                                       // 00000000889C: 7E0E4107
	v_add_f32_e64 v4, v4, 1.0                                  // 0000000088A0: D1010004 0001E504
	v_add_f32_e64 v5, v5, 1.0                                  // 0000000088A8: D1010005 0001E505
	v_add_f32_e64 v6, v6, 1.0                                  // 0000000088B0: D1010006 0001E506
	v_add_f32_e64 v7, v7, 1.0                                  // 0000000088B8: D1010007 0001E507
	v_rcp_f32_e32 v4, v4                                       // 0000000088C0: 7E084504
	v_rcp_f32_e32 v5, v5                                       // 0000000088C4: 7E0A4505
	v_rcp_f32_e32 v6, v6                                       // 0000000088C8: 7E0C4506
	v_rcp_f32_e32 v7, v7                                       // 0000000088CC: 7E0E4507
	v_mul_f32_e32 v96, v96, v4                                 // 0000000088D0: 0AC00960
	v_mul_f32_e32 v97, v97, v5                                 // 0000000088D4: 0AC20B61
	v_mul_f32_e32 v98, v98, v6                                 // 0000000088D8: 0AC40D62
	v_mul_f32_e32 v99, v99, v7                                 // 0000000088DC: 0AC60F63
	v_mul_f32_e32 v96, v96, v128                               // 0000000088E0: 0AC10160
	v_mul_f32_e32 v97, v97, v129                               // 0000000088E4: 0AC30361
	v_mul_f32_e32 v98, v98, v130                               // 0000000088E8: 0AC50562
	v_mul_f32_e32 v99, v99, v131                               // 0000000088EC: 0AC70763
	v_mul_f32_e64 v4, -v100, s6                                // 0000000088F0: D1050004 20000D64
	v_mul_f32_e64 v5, -v101, s6                                // 0000000088F8: D1050005 20000D65
	v_mul_f32_e64 v6, -v102, s6                                // 000000008900: D1050006 20000D66
	v_mul_f32_e64 v7, -v103, s6                                // 000000008908: D1050007 20000D67
	v_exp_f32_e32 v4, v4                                       // 000000008910: 7E084104
	v_exp_f32_e32 v5, v5                                       // 000000008914: 7E0A4105
	v_exp_f32_e32 v6, v6                                       // 000000008918: 7E0C4106
	v_exp_f32_e32 v7, v7                                       // 00000000891C: 7E0E4107
	v_add_f32_e64 v4, v4, 1.0                                  // 000000008920: D1010004 0001E504
	v_add_f32_e64 v5, v5, 1.0                                  // 000000008928: D1010005 0001E505
	v_add_f32_e64 v6, v6, 1.0                                  // 000000008930: D1010006 0001E506
	v_add_f32_e64 v7, v7, 1.0                                  // 000000008938: D1010007 0001E507
	v_rcp_f32_e32 v4, v4                                       // 000000008940: 7E084504
	v_rcp_f32_e32 v5, v5                                       // 000000008944: 7E0A4505
	v_rcp_f32_e32 v6, v6                                       // 000000008948: 7E0C4506
	v_rcp_f32_e32 v7, v7                                       // 00000000894C: 7E0E4507
	v_mul_f32_e32 v100, v100, v4                               // 000000008950: 0AC80964
	v_mul_f32_e32 v101, v101, v5                               // 000000008954: 0ACA0B65
	v_mul_f32_e32 v102, v102, v6                               // 000000008958: 0ACC0D66
	v_mul_f32_e32 v103, v103, v7                               // 00000000895C: 0ACE0F67
	v_mul_f32_e32 v100, v100, v132                             // 000000008960: 0AC90964
	v_mul_f32_e32 v101, v101, v133                             // 000000008964: 0ACB0B65
	v_mul_f32_e32 v102, v102, v134                             // 000000008968: 0ACD0D66
	v_mul_f32_e32 v103, v103, v135                             // 00000000896C: 0ACF0F67
	v_mul_f32_e64 v4, -v104, s6                                // 000000008970: D1050004 20000D68
	v_mul_f32_e64 v5, -v105, s6                                // 000000008978: D1050005 20000D69
	v_mul_f32_e64 v6, -v106, s6                                // 000000008980: D1050006 20000D6A
	v_mul_f32_e64 v7, -v107, s6                                // 000000008988: D1050007 20000D6B
	v_exp_f32_e32 v4, v4                                       // 000000008990: 7E084104
	v_exp_f32_e32 v5, v5                                       // 000000008994: 7E0A4105
	v_exp_f32_e32 v6, v6                                       // 000000008998: 7E0C4106
	v_exp_f32_e32 v7, v7                                       // 00000000899C: 7E0E4107
	v_add_f32_e64 v4, v4, 1.0                                  // 0000000089A0: D1010004 0001E504
	v_add_f32_e64 v5, v5, 1.0                                  // 0000000089A8: D1010005 0001E505
	v_add_f32_e64 v6, v6, 1.0                                  // 0000000089B0: D1010006 0001E506
	v_add_f32_e64 v7, v7, 1.0                                  // 0000000089B8: D1010007 0001E507
	v_rcp_f32_e32 v4, v4                                       // 0000000089C0: 7E084504
	v_rcp_f32_e32 v5, v5                                       // 0000000089C4: 7E0A4505
	v_rcp_f32_e32 v6, v6                                       // 0000000089C8: 7E0C4506
	v_rcp_f32_e32 v7, v7                                       // 0000000089CC: 7E0E4507
	v_mul_f32_e32 v104, v104, v4                               // 0000000089D0: 0AD00968
	v_mul_f32_e32 v105, v105, v5                               // 0000000089D4: 0AD20B69
	v_mul_f32_e32 v106, v106, v6                               // 0000000089D8: 0AD40D6A
	v_mul_f32_e32 v107, v107, v7                               // 0000000089DC: 0AD60F6B
	v_mul_f32_e32 v104, v104, v136                             // 0000000089E0: 0AD11168
	v_mul_f32_e32 v105, v105, v137                             // 0000000089E4: 0AD31369
	v_mul_f32_e32 v106, v106, v138                             // 0000000089E8: 0AD5156A
	v_mul_f32_e32 v107, v107, v139                             // 0000000089EC: 0AD7176B
	v_mul_f32_e64 v4, -v108, s6                                // 0000000089F0: D1050004 20000D6C
	v_mul_f32_e64 v5, -v109, s6                                // 0000000089F8: D1050005 20000D6D
	v_mul_f32_e64 v6, -v110, s6                                // 000000008A00: D1050006 20000D6E
	v_mul_f32_e64 v7, -v111, s6                                // 000000008A08: D1050007 20000D6F
	v_exp_f32_e32 v4, v4                                       // 000000008A10: 7E084104
	v_exp_f32_e32 v5, v5                                       // 000000008A14: 7E0A4105
	v_exp_f32_e32 v6, v6                                       // 000000008A18: 7E0C4106
	v_exp_f32_e32 v7, v7                                       // 000000008A1C: 7E0E4107
	v_add_f32_e64 v4, v4, 1.0                                  // 000000008A20: D1010004 0001E504
	v_add_f32_e64 v5, v5, 1.0                                  // 000000008A28: D1010005 0001E505
	v_add_f32_e64 v6, v6, 1.0                                  // 000000008A30: D1010006 0001E506
	v_add_f32_e64 v7, v7, 1.0                                  // 000000008A38: D1010007 0001E507
	v_rcp_f32_e32 v4, v4                                       // 000000008A40: 7E084504
	v_rcp_f32_e32 v5, v5                                       // 000000008A44: 7E0A4505
	v_rcp_f32_e32 v6, v6                                       // 000000008A48: 7E0C4506
	v_rcp_f32_e32 v7, v7                                       // 000000008A4C: 7E0E4507
	v_mul_f32_e32 v108, v108, v4                               // 000000008A50: 0AD8096C
	v_mul_f32_e32 v109, v109, v5                               // 000000008A54: 0ADA0B6D
	v_mul_f32_e32 v110, v110, v6                               // 000000008A58: 0ADC0D6E
	v_mul_f32_e32 v111, v111, v7                               // 000000008A5C: 0ADE0F6F
	v_mul_f32_e32 v108, v108, v140                             // 000000008A60: 0AD9196C
	v_mul_f32_e32 v109, v109, v141                             // 000000008A64: 0ADB1B6D
	v_mul_f32_e32 v110, v110, v142                             // 000000008A68: 0ADD1D6E
	v_mul_f32_e32 v111, v111, v143                             // 000000008A6C: 0ADF1F6F

0000000000008a70 <label_181F>:
	v_cmp_u_f32_e64 s[46:47], v80, v80                         // 000000008A70: D048002E 0002A150
	v_add3_u32 v16, v80, v19, 1                                // 000000008A78: D1FF0010 02062750
	v_cndmask_b32_e64 v4, v16, v18, s[46:47]                   // 000000008A80: D1000004 00BA2510
	v_cmp_u_f32_e64 s[46:47], v81, v81                         // 000000008A88: D048002E 0002A351
	v_add3_u32 v16, v81, v19, 1                                // 000000008A90: D1FF0010 02062751
	v_cndmask_b32_e64 v5, v16, v18, s[46:47]                   // 000000008A98: D1000005 00BA2510
	v_perm_b32 v80, v5, v4, s52                                // 000000008AA0: D1ED0050 00D20905
	v_cmp_u_f32_e64 s[46:47], v82, v82                         // 000000008AA8: D048002E 0002A552
	v_add3_u32 v16, v82, v19, 1                                // 000000008AB0: D1FF0010 02062752
	v_cndmask_b32_e64 v4, v16, v18, s[46:47]                   // 000000008AB8: D1000004 00BA2510
	v_cmp_u_f32_e64 s[46:47], v83, v83                         // 000000008AC0: D048002E 0002A753
	v_add3_u32 v16, v83, v19, 1                                // 000000008AC8: D1FF0010 02062753
	v_cndmask_b32_e64 v5, v16, v18, s[46:47]                   // 000000008AD0: D1000005 00BA2510
	v_perm_b32 v81, v5, v4, s52                                // 000000008AD8: D1ED0051 00D20905
	v_cmp_u_f32_e64 s[46:47], v84, v84                         // 000000008AE0: D048002E 0002A954
	v_add3_u32 v16, v84, v19, 1                                // 000000008AE8: D1FF0010 02062754
	v_cndmask_b32_e64 v4, v16, v18, s[46:47]                   // 000000008AF0: D1000004 00BA2510
	v_cmp_u_f32_e64 s[46:47], v85, v85                         // 000000008AF8: D048002E 0002AB55
	v_add3_u32 v16, v85, v19, 1                                // 000000008B00: D1FF0010 02062755
	v_cndmask_b32_e64 v5, v16, v18, s[46:47]                   // 000000008B08: D1000005 00BA2510
	v_perm_b32 v82, v5, v4, s52                                // 000000008B10: D1ED0052 00D20905
	v_cmp_u_f32_e64 s[46:47], v86, v86                         // 000000008B18: D048002E 0002AD56
	v_add3_u32 v16, v86, v19, 1                                // 000000008B20: D1FF0010 02062756
	v_cndmask_b32_e64 v4, v16, v18, s[46:47]                   // 000000008B28: D1000004 00BA2510
	v_cmp_u_f32_e64 s[46:47], v87, v87                         // 000000008B30: D048002E 0002AF57
	v_add3_u32 v16, v87, v19, 1                                // 000000008B38: D1FF0010 02062757
	v_cndmask_b32_e64 v5, v16, v18, s[46:47]                   // 000000008B40: D1000005 00BA2510
	v_perm_b32 v83, v5, v4, s52                                // 000000008B48: D1ED0053 00D20905
	v_cmp_u_f32_e64 s[46:47], v88, v88                         // 000000008B50: D048002E 0002B158
	v_add3_u32 v16, v88, v19, 1                                // 000000008B58: D1FF0010 02062758
	v_cndmask_b32_e64 v4, v16, v18, s[46:47]                   // 000000008B60: D1000004 00BA2510
	v_cmp_u_f32_e64 s[46:47], v89, v89                         // 000000008B68: D048002E 0002B359
	v_add3_u32 v16, v89, v19, 1                                // 000000008B70: D1FF0010 02062759
	v_cndmask_b32_e64 v5, v16, v18, s[46:47]                   // 000000008B78: D1000005 00BA2510
	v_perm_b32 v84, v5, v4, s52                                // 000000008B80: D1ED0054 00D20905
	v_cmp_u_f32_e64 s[46:47], v90, v90                         // 000000008B88: D048002E 0002B55A
	v_add3_u32 v16, v90, v19, 1                                // 000000008B90: D1FF0010 0206275A
	v_cndmask_b32_e64 v4, v16, v18, s[46:47]                   // 000000008B98: D1000004 00BA2510
	v_cmp_u_f32_e64 s[46:47], v91, v91                         // 000000008BA0: D048002E 0002B75B
	v_add3_u32 v16, v91, v19, 1                                // 000000008BA8: D1FF0010 0206275B
	v_cndmask_b32_e64 v5, v16, v18, s[46:47]                   // 000000008BB0: D1000005 00BA2510
	v_perm_b32 v85, v5, v4, s52                                // 000000008BB8: D1ED0055 00D20905
	v_cmp_u_f32_e64 s[46:47], v92, v92                         // 000000008BC0: D048002E 0002B95C
	v_add3_u32 v16, v92, v19, 1                                // 000000008BC8: D1FF0010 0206275C
	v_cndmask_b32_e64 v4, v16, v18, s[46:47]                   // 000000008BD0: D1000004 00BA2510
	v_cmp_u_f32_e64 s[46:47], v93, v93                         // 000000008BD8: D048002E 0002BB5D
	v_add3_u32 v16, v93, v19, 1                                // 000000008BE0: D1FF0010 0206275D
	v_cndmask_b32_e64 v5, v16, v18, s[46:47]                   // 000000008BE8: D1000005 00BA2510
	v_perm_b32 v86, v5, v4, s52                                // 000000008BF0: D1ED0056 00D20905
	v_cmp_u_f32_e64 s[46:47], v94, v94                         // 000000008BF8: D048002E 0002BD5E
	v_add3_u32 v16, v94, v19, 1                                // 000000008C00: D1FF0010 0206275E
	v_cndmask_b32_e64 v4, v16, v18, s[46:47]                   // 000000008C08: D1000004 00BA2510
	v_cmp_u_f32_e64 s[46:47], v95, v95                         // 000000008C10: D048002E 0002BF5F
	v_add3_u32 v16, v95, v19, 1                                // 000000008C18: D1FF0010 0206275F
	v_cndmask_b32_e64 v5, v16, v18, s[46:47]                   // 000000008C20: D1000005 00BA2510
	v_perm_b32 v87, v5, v4, s52                                // 000000008C28: D1ED0057 00D20905
	v_cmp_u_f32_e64 s[46:47], v96, v96                         // 000000008C30: D048002E 0002C160
	v_add3_u32 v16, v96, v19, 1                                // 000000008C38: D1FF0010 02062760
	v_cndmask_b32_e64 v4, v16, v18, s[46:47]                   // 000000008C40: D1000004 00BA2510
	v_cmp_u_f32_e64 s[46:47], v97, v97                         // 000000008C48: D048002E 0002C361
	v_add3_u32 v16, v97, v19, 1                                // 000000008C50: D1FF0010 02062761
	v_cndmask_b32_e64 v5, v16, v18, s[46:47]                   // 000000008C58: D1000005 00BA2510
	v_perm_b32 v88, v5, v4, s52                                // 000000008C60: D1ED0058 00D20905
	v_cmp_u_f32_e64 s[46:47], v98, v98                         // 000000008C68: D048002E 0002C562
	v_add3_u32 v16, v98, v19, 1                                // 000000008C70: D1FF0010 02062762
	v_cndmask_b32_e64 v4, v16, v18, s[46:47]                   // 000000008C78: D1000004 00BA2510
	v_cmp_u_f32_e64 s[46:47], v99, v99                         // 000000008C80: D048002E 0002C763
	v_add3_u32 v16, v99, v19, 1                                // 000000008C88: D1FF0010 02062763
	v_cndmask_b32_e64 v5, v16, v18, s[46:47]                   // 000000008C90: D1000005 00BA2510
	v_perm_b32 v89, v5, v4, s52                                // 000000008C98: D1ED0059 00D20905
	v_cmp_u_f32_e64 s[46:47], v100, v100                       // 000000008CA0: D048002E 0002C964
	v_add3_u32 v16, v100, v19, 1                               // 000000008CA8: D1FF0010 02062764
	v_cndmask_b32_e64 v4, v16, v18, s[46:47]                   // 000000008CB0: D1000004 00BA2510
	v_cmp_u_f32_e64 s[46:47], v101, v101                       // 000000008CB8: D048002E 0002CB65
	v_add3_u32 v16, v101, v19, 1                               // 000000008CC0: D1FF0010 02062765
	v_cndmask_b32_e64 v5, v16, v18, s[46:47]                   // 000000008CC8: D1000005 00BA2510
	v_perm_b32 v90, v5, v4, s52                                // 000000008CD0: D1ED005A 00D20905
	v_cmp_u_f32_e64 s[46:47], v102, v102                       // 000000008CD8: D048002E 0002CD66
	v_add3_u32 v16, v102, v19, 1                               // 000000008CE0: D1FF0010 02062766
	v_cndmask_b32_e64 v4, v16, v18, s[46:47]                   // 000000008CE8: D1000004 00BA2510
	v_cmp_u_f32_e64 s[46:47], v103, v103                       // 000000008CF0: D048002E 0002CF67
	v_add3_u32 v16, v103, v19, 1                               // 000000008CF8: D1FF0010 02062767
	v_cndmask_b32_e64 v5, v16, v18, s[46:47]                   // 000000008D00: D1000005 00BA2510
	v_perm_b32 v91, v5, v4, s52                                // 000000008D08: D1ED005B 00D20905
	v_cmp_u_f32_e64 s[46:47], v104, v104                       // 000000008D10: D048002E 0002D168
	v_add3_u32 v16, v104, v19, 1                               // 000000008D18: D1FF0010 02062768
	v_cndmask_b32_e64 v4, v16, v18, s[46:47]                   // 000000008D20: D1000004 00BA2510
	v_cmp_u_f32_e64 s[46:47], v105, v105                       // 000000008D28: D048002E 0002D369
	v_add3_u32 v16, v105, v19, 1                               // 000000008D30: D1FF0010 02062769
	v_cndmask_b32_e64 v5, v16, v18, s[46:47]                   // 000000008D38: D1000005 00BA2510
	v_perm_b32 v92, v5, v4, s52                                // 000000008D40: D1ED005C 00D20905
	v_cmp_u_f32_e64 s[46:47], v106, v106                       // 000000008D48: D048002E 0002D56A
	v_add3_u32 v16, v106, v19, 1                               // 000000008D50: D1FF0010 0206276A
	v_cndmask_b32_e64 v4, v16, v18, s[46:47]                   // 000000008D58: D1000004 00BA2510
	v_cmp_u_f32_e64 s[46:47], v107, v107                       // 000000008D60: D048002E 0002D76B
	v_add3_u32 v16, v107, v19, 1                               // 000000008D68: D1FF0010 0206276B
	v_cndmask_b32_e64 v5, v16, v18, s[46:47]                   // 000000008D70: D1000005 00BA2510
	v_perm_b32 v93, v5, v4, s52                                // 000000008D78: D1ED005D 00D20905
	v_cmp_u_f32_e64 s[46:47], v108, v108                       // 000000008D80: D048002E 0002D96C
	v_add3_u32 v16, v108, v19, 1                               // 000000008D88: D1FF0010 0206276C
	v_cndmask_b32_e64 v4, v16, v18, s[46:47]                   // 000000008D90: D1000004 00BA2510
	v_cmp_u_f32_e64 s[46:47], v109, v109                       // 000000008D98: D048002E 0002DB6D
	v_add3_u32 v16, v109, v19, 1                               // 000000008DA0: D1FF0010 0206276D
	v_cndmask_b32_e64 v5, v16, v18, s[46:47]                   // 000000008DA8: D1000005 00BA2510
	v_perm_b32 v94, v5, v4, s52                                // 000000008DB0: D1ED005E 00D20905
	v_cmp_u_f32_e64 s[46:47], v110, v110                       // 000000008DB8: D048002E 0002DD6E
	v_add3_u32 v16, v110, v19, 1                               // 000000008DC0: D1FF0010 0206276E
	v_cndmask_b32_e64 v4, v16, v18, s[46:47]                   // 000000008DC8: D1000004 00BA2510
	v_cmp_u_f32_e64 s[46:47], v111, v111                       // 000000008DD0: D048002E 0002DF6F
	v_add3_u32 v16, v111, v19, 1                               // 000000008DD8: D1FF0010 0206276F
	v_cndmask_b32_e64 v5, v16, v18, s[46:47]                   // 000000008DE0: D1000005 00BA2510
	v_perm_b32 v95, v5, v4, s52                                // 000000008DE8: D1ED005F 00D20905
	ds_write_b64 v20, v[80:81]                                 // 000000008DF0: D89A0000 00005014
	ds_write_b64 v20, v[82:83] offset:2176                     // 000000008DF8: D89A0880 00005214
	ds_write_b64 v20, v[84:85] offset:4352                     // 000000008E00: D89A1100 00005414
	ds_write_b64 v20, v[86:87] offset:6528                     // 000000008E08: D89A1980 00005614
	ds_write_b64 v20, v[88:89] offset:8704                     // 000000008E10: D89A2200 00005814
	ds_write_b64 v20, v[90:91] offset:10880                    // 000000008E18: D89A2A80 00005A14
	ds_write_b64 v20, v[92:93] offset:13056                    // 000000008E20: D89A3300 00005C14
	ds_write_b64 v20, v[94:95] offset:15232                    // 000000008E28: D89A3B80 00005E14
	v_lshrrev_b32_e32 v4, 5, v0                                // 000000008E30: 20080085
	v_xor_b32_e32 v5, 1, v4                                    // 000000008E34: 2A0A0881
	s_mul_i32 s60, s65, 2                                      // 000000008E38: 923C8241
	s_cmp_eq_u32 s88, 0                                        // 000000008E3C: BF068058
	s_cselect_b32 s61, 1, 4                                    // 000000008E40: 853D8481
	s_mul_i32 s60, s61, s60                                    // 000000008E44: 923C3C3D
	v_readlane_b32 s82, v3, 0                                  // 000000008E48: D2890052 00010103
	s_lshr_b32 s61, s82, 24                                    // 000000008E50: 8F3D9852
	s_and_b32 s82, s82, 0xffffff                               // 000000008E54: 8652FF52 00FFFFFF
	s_mul_i32 s82, s82, s71                                    // 000000008E5C: 92524752
	s_mul_i32 s61, s60, s61                                    // 000000008E60: 923D3D3C
	s_add_u32 s82, s82, s61                                    // 000000008E64: 80523D52
	v_mul_lo_u32 v6, v5, s82                                   // 000000008E68: D2850006 0000A505
	v_readlane_b32 s82, v3, 1                                  // 000000008E70: D2890052 00010303
	s_lshr_b32 s61, s82, 24                                    // 000000008E78: 8F3D9852
	s_and_b32 s82, s82, 0xffffff                               // 000000008E7C: 8652FF52 00FFFFFF
	s_mul_i32 s82, s82, s71                                    // 000000008E84: 92524752
	s_mul_i32 s61, s60, s61                                    // 000000008E88: 923D3D3C
	s_add_u32 s82, s82, s61                                    // 000000008E8C: 80523D52
	v_mul_lo_u32 v7, v4, s82                                   // 000000008E90: D2850007 0000A504
	v_add_u32_e32 v60, v6, v7                                  // 000000008E98: 68780F06
	v_readlane_b32 s82, v3, 2                                  // 000000008E9C: D2890052 00010503
	s_lshr_b32 s61, s82, 24                                    // 000000008EA4: 8F3D9852
	s_and_b32 s82, s82, 0xffffff                               // 000000008EA8: 8652FF52 00FFFFFF
	s_mul_i32 s82, s82, s71                                    // 000000008EB0: 92524752
	s_mul_i32 s61, s60, s61                                    // 000000008EB4: 923D3D3C
	s_add_u32 s82, s82, s61                                    // 000000008EB8: 80523D52
	v_mul_lo_u32 v6, v5, s82                                   // 000000008EBC: D2850006 0000A505
	v_readlane_b32 s82, v3, 3                                  // 000000008EC4: D2890052 00010703
	s_lshr_b32 s61, s82, 24                                    // 000000008ECC: 8F3D9852
	s_and_b32 s82, s82, 0xffffff                               // 000000008ED0: 8652FF52 00FFFFFF
	s_mul_i32 s82, s82, s71                                    // 000000008ED8: 92524752
	s_mul_i32 s61, s60, s61                                    // 000000008EDC: 923D3D3C
	s_add_u32 s82, s82, s61                                    // 000000008EE0: 80523D52
	v_mul_lo_u32 v7, v4, s82                                   // 000000008EE4: D2850007 0000A504
	v_add_u32_e32 v61, v6, v7                                  // 000000008EEC: 687A0F06
	v_readlane_b32 s82, v3, 4                                  // 000000008EF0: D2890052 00010903
	s_lshr_b32 s61, s82, 24                                    // 000000008EF8: 8F3D9852
	s_and_b32 s82, s82, 0xffffff                               // 000000008EFC: 8652FF52 00FFFFFF
	s_mul_i32 s82, s82, s71                                    // 000000008F04: 92524752
	s_mul_i32 s61, s60, s61                                    // 000000008F08: 923D3D3C
	s_add_u32 s82, s82, s61                                    // 000000008F0C: 80523D52
	v_mul_lo_u32 v6, v5, s82                                   // 000000008F10: D2850006 0000A505
	v_readlane_b32 s82, v3, 5                                  // 000000008F18: D2890052 00010B03
	s_lshr_b32 s61, s82, 24                                    // 000000008F20: 8F3D9852
	s_and_b32 s82, s82, 0xffffff                               // 000000008F24: 8652FF52 00FFFFFF
	s_mul_i32 s82, s82, s71                                    // 000000008F2C: 92524752
	s_mul_i32 s61, s60, s61                                    // 000000008F30: 923D3D3C
	s_add_u32 s82, s82, s61                                    // 000000008F34: 80523D52
	v_mul_lo_u32 v7, v4, s82                                   // 000000008F38: D2850007 0000A504
	v_add_u32_e32 v62, v6, v7                                  // 000000008F40: 687C0F06
	v_readlane_b32 s82, v3, 6                                  // 000000008F44: D2890052 00010D03
	s_lshr_b32 s61, s82, 24                                    // 000000008F4C: 8F3D9852
	s_and_b32 s82, s82, 0xffffff                               // 000000008F50: 8652FF52 00FFFFFF
	s_mul_i32 s82, s82, s71                                    // 000000008F58: 92524752
	s_mul_i32 s61, s60, s61                                    // 000000008F5C: 923D3D3C
	s_add_u32 s82, s82, s61                                    // 000000008F60: 80523D52
	v_mul_lo_u32 v6, v5, s82                                   // 000000008F64: D2850006 0000A505
	v_readlane_b32 s82, v3, 7                                  // 000000008F6C: D2890052 00010F03
	s_lshr_b32 s61, s82, 24                                    // 000000008F74: 8F3D9852
	s_and_b32 s82, s82, 0xffffff                               // 000000008F78: 8652FF52 00FFFFFF
	s_mul_i32 s82, s82, s71                                    // 000000008F80: 92524752
	s_mul_i32 s61, s60, s61                                    // 000000008F84: 923D3D3C
	s_add_u32 s82, s82, s61                                    // 000000008F88: 80523D52
	v_mul_lo_u32 v7, v4, s82                                   // 000000008F8C: D2850007 0000A504
	v_add_u32_e32 v63, v6, v7                                  // 000000008F94: 687E0F06
	v_readlane_b32 s82, v3, 8                                  // 000000008F98: D2890052 00011103
	s_lshr_b32 s61, s82, 24                                    // 000000008FA0: 8F3D9852
	s_and_b32 s82, s82, 0xffffff                               // 000000008FA4: 8652FF52 00FFFFFF
	s_mul_i32 s82, s82, s71                                    // 000000008FAC: 92524752
	s_mul_i32 s61, s60, s61                                    // 000000008FB0: 923D3D3C
	s_add_u32 s82, s82, s61                                    // 000000008FB4: 80523D52
	v_mul_lo_u32 v6, v5, s82                                   // 000000008FB8: D2850006 0000A505
	v_readlane_b32 s82, v3, 9                                  // 000000008FC0: D2890052 00011303
	s_lshr_b32 s61, s82, 24                                    // 000000008FC8: 8F3D9852
	s_and_b32 s82, s82, 0xffffff                               // 000000008FCC: 8652FF52 00FFFFFF
	s_mul_i32 s82, s82, s71                                    // 000000008FD4: 92524752
	s_mul_i32 s61, s60, s61                                    // 000000008FD8: 923D3D3C
	s_add_u32 s82, s82, s61                                    // 000000008FDC: 80523D52
	v_mul_lo_u32 v7, v4, s82                                   // 000000008FE0: D2850007 0000A504
	v_add_u32_e32 v64, v6, v7                                  // 000000008FE8: 68800F06
	v_readlane_b32 s82, v3, 10                                 // 000000008FEC: D2890052 00011503
	s_lshr_b32 s61, s82, 24                                    // 000000008FF4: 8F3D9852
	s_and_b32 s82, s82, 0xffffff                               // 000000008FF8: 8652FF52 00FFFFFF
	s_mul_i32 s82, s82, s71                                    // 000000009000: 92524752
	s_mul_i32 s61, s60, s61                                    // 000000009004: 923D3D3C
	s_add_u32 s82, s82, s61                                    // 000000009008: 80523D52
	v_mul_lo_u32 v6, v5, s82                                   // 00000000900C: D2850006 0000A505
	v_readlane_b32 s82, v3, 11                                 // 000000009014: D2890052 00011703
	s_lshr_b32 s61, s82, 24                                    // 00000000901C: 8F3D9852
	s_and_b32 s82, s82, 0xffffff                               // 000000009020: 8652FF52 00FFFFFF
	s_mul_i32 s82, s82, s71                                    // 000000009028: 92524752
	s_mul_i32 s61, s60, s61                                    // 00000000902C: 923D3D3C
	s_add_u32 s82, s82, s61                                    // 000000009030: 80523D52
	v_mul_lo_u32 v7, v4, s82                                   // 000000009034: D2850007 0000A504
	v_add_u32_e32 v65, v6, v7                                  // 00000000903C: 68820F06
	v_readlane_b32 s82, v3, 12                                 // 000000009040: D2890052 00011903
	s_lshr_b32 s61, s82, 24                                    // 000000009048: 8F3D9852
	s_and_b32 s82, s82, 0xffffff                               // 00000000904C: 8652FF52 00FFFFFF
	s_mul_i32 s82, s82, s71                                    // 000000009054: 92524752
	s_mul_i32 s61, s60, s61                                    // 000000009058: 923D3D3C
	s_add_u32 s82, s82, s61                                    // 00000000905C: 80523D52
	v_mul_lo_u32 v6, v5, s82                                   // 000000009060: D2850006 0000A505
	v_readlane_b32 s82, v3, 13                                 // 000000009068: D2890052 00011B03
	s_lshr_b32 s61, s82, 24                                    // 000000009070: 8F3D9852
	s_and_b32 s82, s82, 0xffffff                               // 000000009074: 8652FF52 00FFFFFF
	s_mul_i32 s82, s82, s71                                    // 00000000907C: 92524752
	s_mul_i32 s61, s60, s61                                    // 000000009080: 923D3D3C
	s_add_u32 s82, s82, s61                                    // 000000009084: 80523D52
	v_mul_lo_u32 v7, v4, s82                                   // 000000009088: D2850007 0000A504
	v_add_u32_e32 v66, v6, v7                                  // 000000009090: 68840F06
	v_readlane_b32 s82, v3, 14                                 // 000000009094: D2890052 00011D03
	s_lshr_b32 s61, s82, 24                                    // 00000000909C: 8F3D9852
	s_and_b32 s82, s82, 0xffffff                               // 0000000090A0: 8652FF52 00FFFFFF
	s_mul_i32 s82, s82, s71                                    // 0000000090A8: 92524752
	s_mul_i32 s61, s60, s61                                    // 0000000090AC: 923D3D3C
	s_add_u32 s82, s82, s61                                    // 0000000090B0: 80523D52
	v_mul_lo_u32 v6, v5, s82                                   // 0000000090B4: D2850006 0000A505
	v_readlane_b32 s82, v3, 15                                 // 0000000090BC: D2890052 00011F03
	s_lshr_b32 s61, s82, 24                                    // 0000000090C4: 8F3D9852
	s_and_b32 s82, s82, 0xffffff                               // 0000000090C8: 8652FF52 00FFFFFF
	s_mul_i32 s82, s82, s71                                    // 0000000090D0: 92524752
	s_mul_i32 s61, s60, s61                                    // 0000000090D4: 923D3D3C
	s_add_u32 s82, s82, s61                                    // 0000000090D8: 80523D52
	v_mul_lo_u32 v7, v4, s82                                   // 0000000090DC: D2850007 0000A504
	v_add_u32_e32 v67, v6, v7                                  // 0000000090E4: 68860F06
	v_readlane_b32 s82, v3, 16                                 // 0000000090E8: D2890052 00012103
	s_lshr_b32 s61, s82, 24                                    // 0000000090F0: 8F3D9852
	s_and_b32 s82, s82, 0xffffff                               // 0000000090F4: 8652FF52 00FFFFFF
	s_mul_i32 s82, s82, s71                                    // 0000000090FC: 92524752
	s_mul_i32 s61, s60, s61                                    // 000000009100: 923D3D3C
	s_add_u32 s82, s82, s61                                    // 000000009104: 80523D52
	v_mul_lo_u32 v6, v5, s82                                   // 000000009108: D2850006 0000A505
	v_readlane_b32 s82, v3, 17                                 // 000000009110: D2890052 00012303
	s_lshr_b32 s61, s82, 24                                    // 000000009118: 8F3D9852
	s_and_b32 s82, s82, 0xffffff                               // 00000000911C: 8652FF52 00FFFFFF
	s_mul_i32 s82, s82, s71                                    // 000000009124: 92524752
	s_mul_i32 s61, s60, s61                                    // 000000009128: 923D3D3C
	s_add_u32 s82, s82, s61                                    // 00000000912C: 80523D52
	v_mul_lo_u32 v7, v4, s82                                   // 000000009130: D2850007 0000A504
	v_add_u32_e32 v68, v6, v7                                  // 000000009138: 68880F06
	v_readlane_b32 s82, v3, 18                                 // 00000000913C: D2890052 00012503
	s_lshr_b32 s61, s82, 24                                    // 000000009144: 8F3D9852
	s_and_b32 s82, s82, 0xffffff                               // 000000009148: 8652FF52 00FFFFFF
	s_mul_i32 s82, s82, s71                                    // 000000009150: 92524752
	s_mul_i32 s61, s60, s61                                    // 000000009154: 923D3D3C
	s_add_u32 s82, s82, s61                                    // 000000009158: 80523D52
	v_mul_lo_u32 v6, v5, s82                                   // 00000000915C: D2850006 0000A505
	v_readlane_b32 s82, v3, 19                                 // 000000009164: D2890052 00012703
	s_lshr_b32 s61, s82, 24                                    // 00000000916C: 8F3D9852
	s_and_b32 s82, s82, 0xffffff                               // 000000009170: 8652FF52 00FFFFFF
	s_mul_i32 s82, s82, s71                                    // 000000009178: 92524752
	s_mul_i32 s61, s60, s61                                    // 00000000917C: 923D3D3C
	s_add_u32 s82, s82, s61                                    // 000000009180: 80523D52
	v_mul_lo_u32 v7, v4, s82                                   // 000000009184: D2850007 0000A504
	v_add_u32_e32 v69, v6, v7                                  // 00000000918C: 688A0F06
	v_readlane_b32 s82, v3, 20                                 // 000000009190: D2890052 00012903
	s_lshr_b32 s61, s82, 24                                    // 000000009198: 8F3D9852
	s_and_b32 s82, s82, 0xffffff                               // 00000000919C: 8652FF52 00FFFFFF
	s_mul_i32 s82, s82, s71                                    // 0000000091A4: 92524752
	s_mul_i32 s61, s60, s61                                    // 0000000091A8: 923D3D3C
	s_add_u32 s82, s82, s61                                    // 0000000091AC: 80523D52
	v_mul_lo_u32 v6, v5, s82                                   // 0000000091B0: D2850006 0000A505
	v_readlane_b32 s82, v3, 21                                 // 0000000091B8: D2890052 00012B03
	s_lshr_b32 s61, s82, 24                                    // 0000000091C0: 8F3D9852
	s_and_b32 s82, s82, 0xffffff                               // 0000000091C4: 8652FF52 00FFFFFF
	s_mul_i32 s82, s82, s71                                    // 0000000091CC: 92524752
	s_mul_i32 s61, s60, s61                                    // 0000000091D0: 923D3D3C
	s_add_u32 s82, s82, s61                                    // 0000000091D4: 80523D52
	v_mul_lo_u32 v7, v4, s82                                   // 0000000091D8: D2850007 0000A504
	v_add_u32_e32 v70, v6, v7                                  // 0000000091E0: 688C0F06
	v_readlane_b32 s82, v3, 22                                 // 0000000091E4: D2890052 00012D03
	s_lshr_b32 s61, s82, 24                                    // 0000000091EC: 8F3D9852
	s_and_b32 s82, s82, 0xffffff                               // 0000000091F0: 8652FF52 00FFFFFF
	s_mul_i32 s82, s82, s71                                    // 0000000091F8: 92524752
	s_mul_i32 s61, s60, s61                                    // 0000000091FC: 923D3D3C
	s_add_u32 s82, s82, s61                                    // 000000009200: 80523D52
	v_mul_lo_u32 v6, v5, s82                                   // 000000009204: D2850006 0000A505
	v_readlane_b32 s82, v3, 23                                 // 00000000920C: D2890052 00012F03
	s_lshr_b32 s61, s82, 24                                    // 000000009214: 8F3D9852
	s_and_b32 s82, s82, 0xffffff                               // 000000009218: 8652FF52 00FFFFFF
	s_mul_i32 s82, s82, s71                                    // 000000009220: 92524752
	s_mul_i32 s61, s60, s61                                    // 000000009224: 923D3D3C
	s_add_u32 s82, s82, s61                                    // 000000009228: 80523D52
	v_mul_lo_u32 v7, v4, s82                                   // 00000000922C: D2850007 0000A504
	v_add_u32_e32 v71, v6, v7                                  // 000000009234: 688E0F06
	v_readlane_b32 s82, v3, 24                                 // 000000009238: D2890052 00013103
	s_lshr_b32 s61, s82, 24                                    // 000000009240: 8F3D9852
	s_and_b32 s82, s82, 0xffffff                               // 000000009244: 8652FF52 00FFFFFF
	s_mul_i32 s82, s82, s71                                    // 00000000924C: 92524752
	s_mul_i32 s61, s60, s61                                    // 000000009250: 923D3D3C
	s_add_u32 s82, s82, s61                                    // 000000009254: 80523D52
	v_mul_lo_u32 v6, v5, s82                                   // 000000009258: D2850006 0000A505
	v_readlane_b32 s82, v3, 25                                 // 000000009260: D2890052 00013303
	s_lshr_b32 s61, s82, 24                                    // 000000009268: 8F3D9852
	s_and_b32 s82, s82, 0xffffff                               // 00000000926C: 8652FF52 00FFFFFF
	s_mul_i32 s82, s82, s71                                    // 000000009274: 92524752
	s_mul_i32 s61, s60, s61                                    // 000000009278: 923D3D3C
	s_add_u32 s82, s82, s61                                    // 00000000927C: 80523D52
	v_mul_lo_u32 v7, v4, s82                                   // 000000009280: D2850007 0000A504
	v_add_u32_e32 v72, v6, v7                                  // 000000009288: 68900F06
	v_readlane_b32 s82, v3, 26                                 // 00000000928C: D2890052 00013503
	s_lshr_b32 s61, s82, 24                                    // 000000009294: 8F3D9852
	s_and_b32 s82, s82, 0xffffff                               // 000000009298: 8652FF52 00FFFFFF
	s_mul_i32 s82, s82, s71                                    // 0000000092A0: 92524752
	s_mul_i32 s61, s60, s61                                    // 0000000092A4: 923D3D3C
	s_add_u32 s82, s82, s61                                    // 0000000092A8: 80523D52
	v_mul_lo_u32 v6, v5, s82                                   // 0000000092AC: D2850006 0000A505
	v_readlane_b32 s82, v3, 27                                 // 0000000092B4: D2890052 00013703
	s_lshr_b32 s61, s82, 24                                    // 0000000092BC: 8F3D9852
	s_and_b32 s82, s82, 0xffffff                               // 0000000092C0: 8652FF52 00FFFFFF
	s_mul_i32 s82, s82, s71                                    // 0000000092C8: 92524752
	s_mul_i32 s61, s60, s61                                    // 0000000092CC: 923D3D3C
	s_add_u32 s82, s82, s61                                    // 0000000092D0: 80523D52
	v_mul_lo_u32 v7, v4, s82                                   // 0000000092D4: D2850007 0000A504
	v_add_u32_e32 v73, v6, v7                                  // 0000000092DC: 68920F06
	v_readlane_b32 s82, v3, 28                                 // 0000000092E0: D2890052 00013903
	s_lshr_b32 s61, s82, 24                                    // 0000000092E8: 8F3D9852
	s_and_b32 s82, s82, 0xffffff                               // 0000000092EC: 8652FF52 00FFFFFF
	s_mul_i32 s82, s82, s71                                    // 0000000092F4: 92524752
	s_mul_i32 s61, s60, s61                                    // 0000000092F8: 923D3D3C
	s_add_u32 s82, s82, s61                                    // 0000000092FC: 80523D52
	v_mul_lo_u32 v6, v5, s82                                   // 000000009300: D2850006 0000A505
	v_readlane_b32 s82, v3, 29                                 // 000000009308: D2890052 00013B03
	s_lshr_b32 s61, s82, 24                                    // 000000009310: 8F3D9852
	s_and_b32 s82, s82, 0xffffff                               // 000000009314: 8652FF52 00FFFFFF
	s_mul_i32 s82, s82, s71                                    // 00000000931C: 92524752
	s_mul_i32 s61, s60, s61                                    // 000000009320: 923D3D3C
	s_add_u32 s82, s82, s61                                    // 000000009324: 80523D52
	v_mul_lo_u32 v7, v4, s82                                   // 000000009328: D2850007 0000A504
	v_add_u32_e32 v74, v6, v7                                  // 000000009330: 68940F06
	v_readlane_b32 s82, v3, 30                                 // 000000009334: D2890052 00013D03
	s_lshr_b32 s61, s82, 24                                    // 00000000933C: 8F3D9852
	s_and_b32 s82, s82, 0xffffff                               // 000000009340: 8652FF52 00FFFFFF
	s_mul_i32 s82, s82, s71                                    // 000000009348: 92524752
	s_mul_i32 s61, s60, s61                                    // 00000000934C: 923D3D3C
	s_add_u32 s82, s82, s61                                    // 000000009350: 80523D52
	v_mul_lo_u32 v6, v5, s82                                   // 000000009354: D2850006 0000A505
	v_readlane_b32 s82, v3, 31                                 // 00000000935C: D2890052 00013F03
	s_lshr_b32 s61, s82, 24                                    // 000000009364: 8F3D9852
	s_and_b32 s82, s82, 0xffffff                               // 000000009368: 8652FF52 00FFFFFF
	s_mul_i32 s82, s82, s71                                    // 000000009370: 92524752
	s_mul_i32 s61, s60, s61                                    // 000000009374: 923D3D3C
	s_add_u32 s82, s82, s61                                    // 000000009378: 80523D52
	v_mul_lo_u32 v7, v4, s82                                   // 00000000937C: D2850007 0000A504
	v_add_u32_e32 v75, v6, v7                                  // 000000009384: 68960F06
	v_and_b32_e32 v4, 31, v0                                   // 000000009388: 2608009F
	v_lshrrev_b32_e32 v4, 1, v4                                // 00000000938C: 20080881
	s_cmp_eq_u32 s88, 0                                        // 000000009390: BF068058
	s_cselect_b32 s61, 2, 4                                    // 000000009394: 853D8482
	v_mul_lo_u32 v4, v4, s61                                   // 000000009398: D2850004 00007B04
	v_and_b32_e64 v5, v0, 1                                    // 0000000093A0: D1130005 00010300
	v_add_u32_e32 v4, v4, v5                                   // 0000000093A8: 68080B04
	v_lshlrev_b32_e32 v4, 2, v4                                // 0000000093AC: 24080882
	v_add_u32_e32 v60, v60, v4                                 // 0000000093B0: 6878093C
	v_add_u32_e32 v61, v61, v4                                 // 0000000093B4: 687A093D
	v_add_u32_e32 v62, v62, v4                                 // 0000000093B8: 687C093E
	v_add_u32_e32 v63, v63, v4                                 // 0000000093BC: 687E093F
	v_add_u32_e32 v64, v64, v4                                 // 0000000093C0: 68800940
	v_add_u32_e32 v65, v65, v4                                 // 0000000093C4: 68820941
	v_add_u32_e32 v66, v66, v4                                 // 0000000093C8: 68840942
	v_add_u32_e32 v67, v67, v4                                 // 0000000093CC: 68860943
	v_add_u32_e32 v68, v68, v4                                 // 0000000093D0: 68880944
	v_add_u32_e32 v69, v69, v4                                 // 0000000093D4: 688A0945
	v_add_u32_e32 v70, v70, v4                                 // 0000000093D8: 688C0946
	v_add_u32_e32 v71, v71, v4                                 // 0000000093DC: 688E0947
	v_add_u32_e32 v72, v72, v4                                 // 0000000093E0: 68900948
	v_add_u32_e32 v73, v73, v4                                 // 0000000093E4: 68920949
	v_add_u32_e32 v74, v74, v4                                 // 0000000093E8: 6894094A
	v_add_u32_e32 v75, v75, v4                                 // 0000000093EC: 6896094B
	s_waitcnt lgkmcnt(0)                                       // 0000000093F0: BF8CC07F
	s_barrier                                                  // 0000000093F4: BF8A0000
	ds_read_b32 v80, v21                                       // 0000000093F8: D86C0000 50000015
	ds_read_b32 v81, v21 offset:64                             // 000000009400: D86C0040 51000015
	ds_read_b32 v82, v21 offset:2176                           // 000000009408: D86C0880 52000015
	ds_read_b32 v83, v21 offset:2240                           // 000000009410: D86C08C0 53000015
	ds_read_b32 v84, v21 offset:4352                           // 000000009418: D86C1100 54000015
	ds_read_b32 v85, v21 offset:4416                           // 000000009420: D86C1140 55000015
	ds_read_b32 v86, v21 offset:6528                           // 000000009428: D86C1980 56000015
	ds_read_b32 v87, v21 offset:6592                           // 000000009430: D86C19C0 57000015
	ds_read_b32 v88, v21 offset:8704                           // 000000009438: D86C2200 58000015
	ds_read_b32 v89, v21 offset:8768                           // 000000009440: D86C2240 59000015
	ds_read_b32 v90, v21 offset:10880                          // 000000009448: D86C2A80 5A000015
	ds_read_b32 v91, v21 offset:10944                          // 000000009450: D86C2AC0 5B000015
	ds_read_b32 v92, v21 offset:13056                          // 000000009458: D86C3300 5C000015
	ds_read_b32 v93, v21 offset:13120                          // 000000009460: D86C3340 5D000015
	ds_read_b32 v94, v21 offset:15232                          // 000000009468: D86C3B80 5E000015
	ds_read_b32 v95, v21 offset:15296                          // 000000009470: D86C3BC0 5F000015
	s_waitcnt lgkmcnt(0)                                       // 000000009478: BF8CC07F
	s_mov_b32 s36, -1                                          // 00000000947C: BEA400C1
	s_mov_b32 s37, -1                                          // 000000009480: BEA500C1
	v_mov_b32_e32 v7, 0                                        // 000000009484: 7E0E0280
	s_or_b32 s9, s9, 0x40000                                   // 000000009488: 8709FF09 00040000
	s_mov_b64 exec, s[36:37]                                   // 000000009490: BEFE0124
	v_mov_b32_e32 v6, v60                                      // 000000009494: 7E0C033C
	s_mov_b64 s[60:61], 0                                      // 000000009498: BEBC0180
	v_readlane_b32 s82, v3, 0                                  // 00000000949C: D2890052 00010103
	s_and_b32 s82, s82, 0xffffff                               // 0000000094A4: 8652FF52 00FFFFFF
	s_cmp_lt_u32 s82, s66                                      // 0000000094AC: BF0A4252
	s_cselect_b32 s20, s36, s60                                // 0000000094B0: 85143C24
	v_readlane_b32 s82, v3, 1                                  // 0000000094B4: D2890052 00010303
	s_and_b32 s82, s82, 0xffffff                               // 0000000094BC: 8652FF52 00FFFFFF
	s_cmp_lt_u32 s82, s66                                      // 0000000094C4: BF0A4252
	s_cselect_b32 s21, s36, s60                                // 0000000094C8: 85153C24
	s_mov_b64 exec, s[20:21]                                   // 0000000094CC: BEFE0114
	buffer_store_dword v80, v6, s[8:11], 0 offen               // 0000000094D0: E0701000 80025006
	s_mov_b64 exec, s[36:37]                                   // 0000000094D8: BEFE0124
	v_mov_b32_e32 v6, v61                                      // 0000000094DC: 7E0C033D
	s_mov_b64 s[60:61], 0                                      // 0000000094E0: BEBC0180
	v_readlane_b32 s82, v3, 2                                  // 0000000094E4: D2890052 00010503
	s_and_b32 s82, s82, 0xffffff                               // 0000000094EC: 8652FF52 00FFFFFF
	s_cmp_lt_u32 s82, s66                                      // 0000000094F4: BF0A4252
	s_cselect_b32 s20, s36, s60                                // 0000000094F8: 85143C24
	v_readlane_b32 s82, v3, 3                                  // 0000000094FC: D2890052 00010703
	s_and_b32 s82, s82, 0xffffff                               // 000000009504: 8652FF52 00FFFFFF
	s_cmp_lt_u32 s82, s66                                      // 00000000950C: BF0A4252
	s_cselect_b32 s21, s36, s60                                // 000000009510: 85153C24
	s_mov_b64 exec, s[20:21]                                   // 000000009514: BEFE0114
	buffer_store_dword v81, v6, s[8:11], 0 offen               // 000000009518: E0701000 80025106
	s_mov_b64 exec, s[36:37]                                   // 000000009520: BEFE0124
	v_mov_b32_e32 v6, v62                                      // 000000009524: 7E0C033E
	s_mov_b64 s[60:61], 0                                      // 000000009528: BEBC0180
	v_readlane_b32 s82, v3, 4                                  // 00000000952C: D2890052 00010903
	s_and_b32 s82, s82, 0xffffff                               // 000000009534: 8652FF52 00FFFFFF
	s_cmp_lt_u32 s82, s66                                      // 00000000953C: BF0A4252
	s_cselect_b32 s20, s36, s60                                // 000000009540: 85143C24
	v_readlane_b32 s82, v3, 5                                  // 000000009544: D2890052 00010B03
	s_and_b32 s82, s82, 0xffffff                               // 00000000954C: 8652FF52 00FFFFFF
	s_cmp_lt_u32 s82, s66                                      // 000000009554: BF0A4252
	s_cselect_b32 s21, s36, s60                                // 000000009558: 85153C24
	s_mov_b64 exec, s[20:21]                                   // 00000000955C: BEFE0114
	buffer_store_dword v82, v6, s[8:11], 0 offen               // 000000009560: E0701000 80025206
	s_mov_b64 exec, s[36:37]                                   // 000000009568: BEFE0124
	v_mov_b32_e32 v6, v63                                      // 00000000956C: 7E0C033F
	s_mov_b64 s[60:61], 0                                      // 000000009570: BEBC0180
	v_readlane_b32 s82, v3, 6                                  // 000000009574: D2890052 00010D03
	s_and_b32 s82, s82, 0xffffff                               // 00000000957C: 8652FF52 00FFFFFF
	s_cmp_lt_u32 s82, s66                                      // 000000009584: BF0A4252
	s_cselect_b32 s20, s36, s60                                // 000000009588: 85143C24
	v_readlane_b32 s82, v3, 7                                  // 00000000958C: D2890052 00010F03
	s_and_b32 s82, s82, 0xffffff                               // 000000009594: 8652FF52 00FFFFFF
	s_cmp_lt_u32 s82, s66                                      // 00000000959C: BF0A4252
	s_cselect_b32 s21, s36, s60                                // 0000000095A0: 85153C24
	s_mov_b64 exec, s[20:21]                                   // 0000000095A4: BEFE0114
	buffer_store_dword v83, v6, s[8:11], 0 offen               // 0000000095A8: E0701000 80025306
	s_mov_b64 exec, s[36:37]                                   // 0000000095B0: BEFE0124
	v_mov_b32_e32 v6, v64                                      // 0000000095B4: 7E0C0340
	s_mov_b64 s[60:61], 0                                      // 0000000095B8: BEBC0180
	v_readlane_b32 s82, v3, 8                                  // 0000000095BC: D2890052 00011103
	s_and_b32 s82, s82, 0xffffff                               // 0000000095C4: 8652FF52 00FFFFFF
	s_cmp_lt_u32 s82, s66                                      // 0000000095CC: BF0A4252
	s_cselect_b32 s20, s36, s60                                // 0000000095D0: 85143C24
	v_readlane_b32 s82, v3, 9                                  // 0000000095D4: D2890052 00011303
	s_and_b32 s82, s82, 0xffffff                               // 0000000095DC: 8652FF52 00FFFFFF
	s_cmp_lt_u32 s82, s66                                      // 0000000095E4: BF0A4252
	s_cselect_b32 s21, s36, s60                                // 0000000095E8: 85153C24
	s_mov_b64 exec, s[20:21]                                   // 0000000095EC: BEFE0114
	buffer_store_dword v84, v6, s[8:11], 0 offen               // 0000000095F0: E0701000 80025406
	s_mov_b64 exec, s[36:37]                                   // 0000000095F8: BEFE0124
	v_mov_b32_e32 v6, v65                                      // 0000000095FC: 7E0C0341
	s_mov_b64 s[60:61], 0                                      // 000000009600: BEBC0180
	v_readlane_b32 s82, v3, 10                                 // 000000009604: D2890052 00011503
	s_and_b32 s82, s82, 0xffffff                               // 00000000960C: 8652FF52 00FFFFFF
	s_cmp_lt_u32 s82, s66                                      // 000000009614: BF0A4252
	s_cselect_b32 s20, s36, s60                                // 000000009618: 85143C24
	v_readlane_b32 s82, v3, 11                                 // 00000000961C: D2890052 00011703
	s_and_b32 s82, s82, 0xffffff                               // 000000009624: 8652FF52 00FFFFFF
	s_cmp_lt_u32 s82, s66                                      // 00000000962C: BF0A4252
	s_cselect_b32 s21, s36, s60                                // 000000009630: 85153C24
	s_mov_b64 exec, s[20:21]                                   // 000000009634: BEFE0114
	buffer_store_dword v85, v6, s[8:11], 0 offen               // 000000009638: E0701000 80025506
	s_mov_b64 exec, s[36:37]                                   // 000000009640: BEFE0124
	v_mov_b32_e32 v6, v66                                      // 000000009644: 7E0C0342
	s_mov_b64 s[60:61], 0                                      // 000000009648: BEBC0180
	v_readlane_b32 s82, v3, 12                                 // 00000000964C: D2890052 00011903
	s_and_b32 s82, s82, 0xffffff                               // 000000009654: 8652FF52 00FFFFFF
	s_cmp_lt_u32 s82, s66                                      // 00000000965C: BF0A4252
	s_cselect_b32 s20, s36, s60                                // 000000009660: 85143C24
	v_readlane_b32 s82, v3, 13                                 // 000000009664: D2890052 00011B03
	s_and_b32 s82, s82, 0xffffff                               // 00000000966C: 8652FF52 00FFFFFF
	s_cmp_lt_u32 s82, s66                                      // 000000009674: BF0A4252
	s_cselect_b32 s21, s36, s60                                // 000000009678: 85153C24
	s_mov_b64 exec, s[20:21]                                   // 00000000967C: BEFE0114
	buffer_store_dword v86, v6, s[8:11], 0 offen               // 000000009680: E0701000 80025606
	s_mov_b64 exec, s[36:37]                                   // 000000009688: BEFE0124
	v_mov_b32_e32 v6, v67                                      // 00000000968C: 7E0C0343
	s_mov_b64 s[60:61], 0                                      // 000000009690: BEBC0180
	v_readlane_b32 s82, v3, 14                                 // 000000009694: D2890052 00011D03
	s_and_b32 s82, s82, 0xffffff                               // 00000000969C: 8652FF52 00FFFFFF
	s_cmp_lt_u32 s82, s66                                      // 0000000096A4: BF0A4252
	s_cselect_b32 s20, s36, s60                                // 0000000096A8: 85143C24
	v_readlane_b32 s82, v3, 15                                 // 0000000096AC: D2890052 00011F03
	s_and_b32 s82, s82, 0xffffff                               // 0000000096B4: 8652FF52 00FFFFFF
	s_cmp_lt_u32 s82, s66                                      // 0000000096BC: BF0A4252
	s_cselect_b32 s21, s36, s60                                // 0000000096C0: 85153C24
	s_mov_b64 exec, s[20:21]                                   // 0000000096C4: BEFE0114
	buffer_store_dword v87, v6, s[8:11], 0 offen               // 0000000096C8: E0701000 80025706
	s_mov_b64 exec, s[36:37]                                   // 0000000096D0: BEFE0124
	v_mov_b32_e32 v6, v68                                      // 0000000096D4: 7E0C0344
	s_mov_b64 s[60:61], 0                                      // 0000000096D8: BEBC0180
	v_readlane_b32 s82, v3, 16                                 // 0000000096DC: D2890052 00012103
	s_and_b32 s82, s82, 0xffffff                               // 0000000096E4: 8652FF52 00FFFFFF
	s_cmp_lt_u32 s82, s66                                      // 0000000096EC: BF0A4252
	s_cselect_b32 s20, s36, s60                                // 0000000096F0: 85143C24
	v_readlane_b32 s82, v3, 17                                 // 0000000096F4: D2890052 00012303
	s_and_b32 s82, s82, 0xffffff                               // 0000000096FC: 8652FF52 00FFFFFF
	s_cmp_lt_u32 s82, s66                                      // 000000009704: BF0A4252
	s_cselect_b32 s21, s36, s60                                // 000000009708: 85153C24
	s_mov_b64 exec, s[20:21]                                   // 00000000970C: BEFE0114
	buffer_store_dword v88, v6, s[8:11], 0 offen               // 000000009710: E0701000 80025806
	s_mov_b64 exec, s[36:37]                                   // 000000009718: BEFE0124
	v_mov_b32_e32 v6, v69                                      // 00000000971C: 7E0C0345
	s_mov_b64 s[60:61], 0                                      // 000000009720: BEBC0180
	v_readlane_b32 s82, v3, 18                                 // 000000009724: D2890052 00012503
	s_and_b32 s82, s82, 0xffffff                               // 00000000972C: 8652FF52 00FFFFFF
	s_cmp_lt_u32 s82, s66                                      // 000000009734: BF0A4252
	s_cselect_b32 s20, s36, s60                                // 000000009738: 85143C24
	v_readlane_b32 s82, v3, 19                                 // 00000000973C: D2890052 00012703
	s_and_b32 s82, s82, 0xffffff                               // 000000009744: 8652FF52 00FFFFFF
	s_cmp_lt_u32 s82, s66                                      // 00000000974C: BF0A4252
	s_cselect_b32 s21, s36, s60                                // 000000009750: 85153C24
	s_mov_b64 exec, s[20:21]                                   // 000000009754: BEFE0114
	buffer_store_dword v89, v6, s[8:11], 0 offen               // 000000009758: E0701000 80025906
	s_mov_b64 exec, s[36:37]                                   // 000000009760: BEFE0124
	v_mov_b32_e32 v6, v70                                      // 000000009764: 7E0C0346
	s_mov_b64 s[60:61], 0                                      // 000000009768: BEBC0180
	v_readlane_b32 s82, v3, 20                                 // 00000000976C: D2890052 00012903
	s_and_b32 s82, s82, 0xffffff                               // 000000009774: 8652FF52 00FFFFFF
	s_cmp_lt_u32 s82, s66                                      // 00000000977C: BF0A4252
	s_cselect_b32 s20, s36, s60                                // 000000009780: 85143C24
	v_readlane_b32 s82, v3, 21                                 // 000000009784: D2890052 00012B03
	s_and_b32 s82, s82, 0xffffff                               // 00000000978C: 8652FF52 00FFFFFF
	s_cmp_lt_u32 s82, s66                                      // 000000009794: BF0A4252
	s_cselect_b32 s21, s36, s60                                // 000000009798: 85153C24
	s_mov_b64 exec, s[20:21]                                   // 00000000979C: BEFE0114
	buffer_store_dword v90, v6, s[8:11], 0 offen               // 0000000097A0: E0701000 80025A06
	s_mov_b64 exec, s[36:37]                                   // 0000000097A8: BEFE0124
	v_mov_b32_e32 v6, v71                                      // 0000000097AC: 7E0C0347
	s_mov_b64 s[60:61], 0                                      // 0000000097B0: BEBC0180
	v_readlane_b32 s82, v3, 22                                 // 0000000097B4: D2890052 00012D03
	s_and_b32 s82, s82, 0xffffff                               // 0000000097BC: 8652FF52 00FFFFFF
	s_cmp_lt_u32 s82, s66                                      // 0000000097C4: BF0A4252
	s_cselect_b32 s20, s36, s60                                // 0000000097C8: 85143C24
	v_readlane_b32 s82, v3, 23                                 // 0000000097CC: D2890052 00012F03
	s_and_b32 s82, s82, 0xffffff                               // 0000000097D4: 8652FF52 00FFFFFF
	s_cmp_lt_u32 s82, s66                                      // 0000000097DC: BF0A4252
	s_cselect_b32 s21, s36, s60                                // 0000000097E0: 85153C24
	s_mov_b64 exec, s[20:21]                                   // 0000000097E4: BEFE0114
	buffer_store_dword v91, v6, s[8:11], 0 offen               // 0000000097E8: E0701000 80025B06
	s_mov_b64 exec, s[36:37]                                   // 0000000097F0: BEFE0124
	v_mov_b32_e32 v6, v72                                      // 0000000097F4: 7E0C0348
	s_mov_b64 s[60:61], 0                                      // 0000000097F8: BEBC0180
	v_readlane_b32 s82, v3, 24                                 // 0000000097FC: D2890052 00013103
	s_and_b32 s82, s82, 0xffffff                               // 000000009804: 8652FF52 00FFFFFF
	s_cmp_lt_u32 s82, s66                                      // 00000000980C: BF0A4252
	s_cselect_b32 s20, s36, s60                                // 000000009810: 85143C24
	v_readlane_b32 s82, v3, 25                                 // 000000009814: D2890052 00013303
	s_and_b32 s82, s82, 0xffffff                               // 00000000981C: 8652FF52 00FFFFFF
	s_cmp_lt_u32 s82, s66                                      // 000000009824: BF0A4252
	s_cselect_b32 s21, s36, s60                                // 000000009828: 85153C24
	s_mov_b64 exec, s[20:21]                                   // 00000000982C: BEFE0114
	buffer_store_dword v92, v6, s[8:11], 0 offen               // 000000009830: E0701000 80025C06
	s_mov_b64 exec, s[36:37]                                   // 000000009838: BEFE0124
	v_mov_b32_e32 v6, v73                                      // 00000000983C: 7E0C0349
	s_mov_b64 s[60:61], 0                                      // 000000009840: BEBC0180
	v_readlane_b32 s82, v3, 26                                 // 000000009844: D2890052 00013503
	s_and_b32 s82, s82, 0xffffff                               // 00000000984C: 8652FF52 00FFFFFF
	s_cmp_lt_u32 s82, s66                                      // 000000009854: BF0A4252
	s_cselect_b32 s20, s36, s60                                // 000000009858: 85143C24
	v_readlane_b32 s82, v3, 27                                 // 00000000985C: D2890052 00013703
	s_and_b32 s82, s82, 0xffffff                               // 000000009864: 8652FF52 00FFFFFF
	s_cmp_lt_u32 s82, s66                                      // 00000000986C: BF0A4252
	s_cselect_b32 s21, s36, s60                                // 000000009870: 85153C24
	s_mov_b64 exec, s[20:21]                                   // 000000009874: BEFE0114
	buffer_store_dword v93, v6, s[8:11], 0 offen               // 000000009878: E0701000 80025D06
	s_mov_b64 exec, s[36:37]                                   // 000000009880: BEFE0124
	v_mov_b32_e32 v6, v74                                      // 000000009884: 7E0C034A
	s_mov_b64 s[60:61], 0                                      // 000000009888: BEBC0180
	v_readlane_b32 s82, v3, 28                                 // 00000000988C: D2890052 00013903
	s_and_b32 s82, s82, 0xffffff                               // 000000009894: 8652FF52 00FFFFFF
	s_cmp_lt_u32 s82, s66                                      // 00000000989C: BF0A4252
	s_cselect_b32 s20, s36, s60                                // 0000000098A0: 85143C24
	v_readlane_b32 s82, v3, 29                                 // 0000000098A4: D2890052 00013B03
	s_and_b32 s82, s82, 0xffffff                               // 0000000098AC: 8652FF52 00FFFFFF
	s_cmp_lt_u32 s82, s66                                      // 0000000098B4: BF0A4252
	s_cselect_b32 s21, s36, s60                                // 0000000098B8: 85153C24
	s_mov_b64 exec, s[20:21]                                   // 0000000098BC: BEFE0114
	buffer_store_dword v94, v6, s[8:11], 0 offen               // 0000000098C0: E0701000 80025E06
	s_mov_b64 exec, s[36:37]                                   // 0000000098C8: BEFE0124
	v_mov_b32_e32 v6, v75                                      // 0000000098CC: 7E0C034B
	s_mov_b64 s[60:61], 0                                      // 0000000098D0: BEBC0180
	v_readlane_b32 s82, v3, 30                                 // 0000000098D4: D2890052 00013D03
	s_and_b32 s82, s82, 0xffffff                               // 0000000098DC: 8652FF52 00FFFFFF
	s_cmp_lt_u32 s82, s66                                      // 0000000098E4: BF0A4252
	s_cselect_b32 s20, s36, s60                                // 0000000098E8: 85143C24
	v_readlane_b32 s82, v3, 31                                 // 0000000098EC: D2890052 00013F03
	s_and_b32 s82, s82, 0xffffff                               // 0000000098F4: 8652FF52 00FFFFFF
	s_cmp_lt_u32 s82, s66                                      // 0000000098FC: BF0A4252
	s_cselect_b32 s21, s36, s60                                // 000000009900: 85153C24
	s_mov_b64 exec, s[20:21]                                   // 000000009904: BEFE0114
	buffer_store_dword v95, v6, s[8:11], 0 offen               // 000000009908: E0701000 80025F06
	s_mov_b64 exec, s[36:37]                                   // 000000009910: BEFE0124
	s_branch label_2293                                        // 000000009914: BF8206CA

0000000000009918 <label_1BC9>:
	ds_write_b64 v20, v[80:81]                                 // 000000009918: D89A0000 00005014
	ds_write_b64 v20, v[84:85] offset:2176                     // 000000009920: D89A0880 00005414
	ds_write_b64 v20, v[88:89] offset:4352                     // 000000009928: D89A1100 00005814
	ds_write_b64 v20, v[92:93] offset:6528                     // 000000009930: D89A1980 00005C14
	ds_write_b64 v20, v[96:97] offset:8704                     // 000000009938: D89A2200 00006014
	ds_write_b64 v20, v[100:101] offset:10880                  // 000000009940: D89A2A80 00006414
	ds_write_b64 v20, v[104:105] offset:13056                  // 000000009948: D89A3300 00006814
	ds_write_b64 v20, v[108:109] offset:15232                  // 000000009950: D89A3B80 00006C14
	v_lshrrev_b32_e32 v4, 5, v0                                // 000000009958: 20080085
	v_xor_b32_e32 v5, 1, v4                                    // 00000000995C: 2A0A0881
	s_mul_i32 s60, s65, 2                                      // 000000009960: 923C8241
	s_cmp_eq_u32 s88, 0                                        // 000000009964: BF068058
	s_cselect_b32 s61, 1, 4                                    // 000000009968: 853D8481
	s_mul_i32 s60, s61, s60                                    // 00000000996C: 923C3C3D
	v_readlane_b32 s82, v3, 0                                  // 000000009970: D2890052 00010103
	s_lshr_b32 s61, s82, 24                                    // 000000009978: 8F3D9852
	s_and_b32 s82, s82, 0xffffff                               // 00000000997C: 8652FF52 00FFFFFF
	s_mul_i32 s82, s82, s71                                    // 000000009984: 92524752
	s_mul_i32 s61, s60, s61                                    // 000000009988: 923D3D3C
	s_add_u32 s82, s82, s61                                    // 00000000998C: 80523D52
	v_mul_lo_u32 v6, v5, s82                                   // 000000009990: D2850006 0000A505
	v_readlane_b32 s82, v3, 1                                  // 000000009998: D2890052 00010303
	s_lshr_b32 s61, s82, 24                                    // 0000000099A0: 8F3D9852
	s_and_b32 s82, s82, 0xffffff                               // 0000000099A4: 8652FF52 00FFFFFF
	s_mul_i32 s82, s82, s71                                    // 0000000099AC: 92524752
	s_mul_i32 s61, s60, s61                                    // 0000000099B0: 923D3D3C
	s_add_u32 s82, s82, s61                                    // 0000000099B4: 80523D52
	v_mul_lo_u32 v7, v4, s82                                   // 0000000099B8: D2850007 0000A504
	v_add_u32_e32 v60, v6, v7                                  // 0000000099C0: 68780F06
	v_readlane_b32 s82, v3, 2                                  // 0000000099C4: D2890052 00010503
	s_lshr_b32 s61, s82, 24                                    // 0000000099CC: 8F3D9852
	s_and_b32 s82, s82, 0xffffff                               // 0000000099D0: 8652FF52 00FFFFFF
	s_mul_i32 s82, s82, s71                                    // 0000000099D8: 92524752
	s_mul_i32 s61, s60, s61                                    // 0000000099DC: 923D3D3C
	s_add_u32 s82, s82, s61                                    // 0000000099E0: 80523D52
	v_mul_lo_u32 v6, v5, s82                                   // 0000000099E4: D2850006 0000A505
	v_readlane_b32 s82, v3, 3                                  // 0000000099EC: D2890052 00010703
	s_lshr_b32 s61, s82, 24                                    // 0000000099F4: 8F3D9852
	s_and_b32 s82, s82, 0xffffff                               // 0000000099F8: 8652FF52 00FFFFFF
	s_mul_i32 s82, s82, s71                                    // 000000009A00: 92524752
	s_mul_i32 s61, s60, s61                                    // 000000009A04: 923D3D3C
	s_add_u32 s82, s82, s61                                    // 000000009A08: 80523D52
	v_mul_lo_u32 v7, v4, s82                                   // 000000009A0C: D2850007 0000A504
	v_add_u32_e32 v61, v6, v7                                  // 000000009A14: 687A0F06
	v_readlane_b32 s82, v3, 4                                  // 000000009A18: D2890052 00010903
	s_lshr_b32 s61, s82, 24                                    // 000000009A20: 8F3D9852
	s_and_b32 s82, s82, 0xffffff                               // 000000009A24: 8652FF52 00FFFFFF
	s_mul_i32 s82, s82, s71                                    // 000000009A2C: 92524752
	s_mul_i32 s61, s60, s61                                    // 000000009A30: 923D3D3C
	s_add_u32 s82, s82, s61                                    // 000000009A34: 80523D52
	v_mul_lo_u32 v6, v5, s82                                   // 000000009A38: D2850006 0000A505
	v_readlane_b32 s82, v3, 5                                  // 000000009A40: D2890052 00010B03
	s_lshr_b32 s61, s82, 24                                    // 000000009A48: 8F3D9852
	s_and_b32 s82, s82, 0xffffff                               // 000000009A4C: 8652FF52 00FFFFFF
	s_mul_i32 s82, s82, s71                                    // 000000009A54: 92524752
	s_mul_i32 s61, s60, s61                                    // 000000009A58: 923D3D3C
	s_add_u32 s82, s82, s61                                    // 000000009A5C: 80523D52
	v_mul_lo_u32 v7, v4, s82                                   // 000000009A60: D2850007 0000A504
	v_add_u32_e32 v62, v6, v7                                  // 000000009A68: 687C0F06
	v_readlane_b32 s82, v3, 6                                  // 000000009A6C: D2890052 00010D03
	s_lshr_b32 s61, s82, 24                                    // 000000009A74: 8F3D9852
	s_and_b32 s82, s82, 0xffffff                               // 000000009A78: 8652FF52 00FFFFFF
	s_mul_i32 s82, s82, s71                                    // 000000009A80: 92524752
	s_mul_i32 s61, s60, s61                                    // 000000009A84: 923D3D3C
	s_add_u32 s82, s82, s61                                    // 000000009A88: 80523D52
	v_mul_lo_u32 v6, v5, s82                                   // 000000009A8C: D2850006 0000A505
	v_readlane_b32 s82, v3, 7                                  // 000000009A94: D2890052 00010F03
	s_lshr_b32 s61, s82, 24                                    // 000000009A9C: 8F3D9852
	s_and_b32 s82, s82, 0xffffff                               // 000000009AA0: 8652FF52 00FFFFFF
	s_mul_i32 s82, s82, s71                                    // 000000009AA8: 92524752
	s_mul_i32 s61, s60, s61                                    // 000000009AAC: 923D3D3C
	s_add_u32 s82, s82, s61                                    // 000000009AB0: 80523D52
	v_mul_lo_u32 v7, v4, s82                                   // 000000009AB4: D2850007 0000A504
	v_add_u32_e32 v63, v6, v7                                  // 000000009ABC: 687E0F06
	v_readlane_b32 s82, v3, 8                                  // 000000009AC0: D2890052 00011103
	s_lshr_b32 s61, s82, 24                                    // 000000009AC8: 8F3D9852
	s_and_b32 s82, s82, 0xffffff                               // 000000009ACC: 8652FF52 00FFFFFF
	s_mul_i32 s82, s82, s71                                    // 000000009AD4: 92524752
	s_mul_i32 s61, s60, s61                                    // 000000009AD8: 923D3D3C
	s_add_u32 s82, s82, s61                                    // 000000009ADC: 80523D52
	v_mul_lo_u32 v6, v5, s82                                   // 000000009AE0: D2850006 0000A505
	v_readlane_b32 s82, v3, 9                                  // 000000009AE8: D2890052 00011303
	s_lshr_b32 s61, s82, 24                                    // 000000009AF0: 8F3D9852
	s_and_b32 s82, s82, 0xffffff                               // 000000009AF4: 8652FF52 00FFFFFF
	s_mul_i32 s82, s82, s71                                    // 000000009AFC: 92524752
	s_mul_i32 s61, s60, s61                                    // 000000009B00: 923D3D3C
	s_add_u32 s82, s82, s61                                    // 000000009B04: 80523D52
	v_mul_lo_u32 v7, v4, s82                                   // 000000009B08: D2850007 0000A504
	v_add_u32_e32 v64, v6, v7                                  // 000000009B10: 68800F06
	v_readlane_b32 s82, v3, 10                                 // 000000009B14: D2890052 00011503
	s_lshr_b32 s61, s82, 24                                    // 000000009B1C: 8F3D9852
	s_and_b32 s82, s82, 0xffffff                               // 000000009B20: 8652FF52 00FFFFFF
	s_mul_i32 s82, s82, s71                                    // 000000009B28: 92524752
	s_mul_i32 s61, s60, s61                                    // 000000009B2C: 923D3D3C
	s_add_u32 s82, s82, s61                                    // 000000009B30: 80523D52
	v_mul_lo_u32 v6, v5, s82                                   // 000000009B34: D2850006 0000A505
	v_readlane_b32 s82, v3, 11                                 // 000000009B3C: D2890052 00011703
	s_lshr_b32 s61, s82, 24                                    // 000000009B44: 8F3D9852
	s_and_b32 s82, s82, 0xffffff                               // 000000009B48: 8652FF52 00FFFFFF
	s_mul_i32 s82, s82, s71                                    // 000000009B50: 92524752
	s_mul_i32 s61, s60, s61                                    // 000000009B54: 923D3D3C
	s_add_u32 s82, s82, s61                                    // 000000009B58: 80523D52
	v_mul_lo_u32 v7, v4, s82                                   // 000000009B5C: D2850007 0000A504
	v_add_u32_e32 v65, v6, v7                                  // 000000009B64: 68820F06
	v_readlane_b32 s82, v3, 12                                 // 000000009B68: D2890052 00011903
	s_lshr_b32 s61, s82, 24                                    // 000000009B70: 8F3D9852
	s_and_b32 s82, s82, 0xffffff                               // 000000009B74: 8652FF52 00FFFFFF
	s_mul_i32 s82, s82, s71                                    // 000000009B7C: 92524752
	s_mul_i32 s61, s60, s61                                    // 000000009B80: 923D3D3C
	s_add_u32 s82, s82, s61                                    // 000000009B84: 80523D52
	v_mul_lo_u32 v6, v5, s82                                   // 000000009B88: D2850006 0000A505
	v_readlane_b32 s82, v3, 13                                 // 000000009B90: D2890052 00011B03
	s_lshr_b32 s61, s82, 24                                    // 000000009B98: 8F3D9852
	s_and_b32 s82, s82, 0xffffff                               // 000000009B9C: 8652FF52 00FFFFFF
	s_mul_i32 s82, s82, s71                                    // 000000009BA4: 92524752
	s_mul_i32 s61, s60, s61                                    // 000000009BA8: 923D3D3C
	s_add_u32 s82, s82, s61                                    // 000000009BAC: 80523D52
	v_mul_lo_u32 v7, v4, s82                                   // 000000009BB0: D2850007 0000A504
	v_add_u32_e32 v66, v6, v7                                  // 000000009BB8: 68840F06
	v_readlane_b32 s82, v3, 14                                 // 000000009BBC: D2890052 00011D03
	s_lshr_b32 s61, s82, 24                                    // 000000009BC4: 8F3D9852
	s_and_b32 s82, s82, 0xffffff                               // 000000009BC8: 8652FF52 00FFFFFF
	s_mul_i32 s82, s82, s71                                    // 000000009BD0: 92524752
	s_mul_i32 s61, s60, s61                                    // 000000009BD4: 923D3D3C
	s_add_u32 s82, s82, s61                                    // 000000009BD8: 80523D52
	v_mul_lo_u32 v6, v5, s82                                   // 000000009BDC: D2850006 0000A505
	v_readlane_b32 s82, v3, 15                                 // 000000009BE4: D2890052 00011F03
	s_lshr_b32 s61, s82, 24                                    // 000000009BEC: 8F3D9852
	s_and_b32 s82, s82, 0xffffff                               // 000000009BF0: 8652FF52 00FFFFFF
	s_mul_i32 s82, s82, s71                                    // 000000009BF8: 92524752
	s_mul_i32 s61, s60, s61                                    // 000000009BFC: 923D3D3C
	s_add_u32 s82, s82, s61                                    // 000000009C00: 80523D52
	v_mul_lo_u32 v7, v4, s82                                   // 000000009C04: D2850007 0000A504
	v_add_u32_e32 v67, v6, v7                                  // 000000009C0C: 68860F06
	v_readlane_b32 s82, v3, 16                                 // 000000009C10: D2890052 00012103
	s_lshr_b32 s61, s82, 24                                    // 000000009C18: 8F3D9852
	s_and_b32 s82, s82, 0xffffff                               // 000000009C1C: 8652FF52 00FFFFFF
	s_mul_i32 s82, s82, s71                                    // 000000009C24: 92524752
	s_mul_i32 s61, s60, s61                                    // 000000009C28: 923D3D3C
	s_add_u32 s82, s82, s61                                    // 000000009C2C: 80523D52
	v_mul_lo_u32 v6, v5, s82                                   // 000000009C30: D2850006 0000A505
	v_readlane_b32 s82, v3, 17                                 // 000000009C38: D2890052 00012303
	s_lshr_b32 s61, s82, 24                                    // 000000009C40: 8F3D9852
	s_and_b32 s82, s82, 0xffffff                               // 000000009C44: 8652FF52 00FFFFFF
	s_mul_i32 s82, s82, s71                                    // 000000009C4C: 92524752
	s_mul_i32 s61, s60, s61                                    // 000000009C50: 923D3D3C
	s_add_u32 s82, s82, s61                                    // 000000009C54: 80523D52
	v_mul_lo_u32 v7, v4, s82                                   // 000000009C58: D2850007 0000A504
	v_add_u32_e32 v68, v6, v7                                  // 000000009C60: 68880F06
	v_readlane_b32 s82, v3, 18                                 // 000000009C64: D2890052 00012503
	s_lshr_b32 s61, s82, 24                                    // 000000009C6C: 8F3D9852
	s_and_b32 s82, s82, 0xffffff                               // 000000009C70: 8652FF52 00FFFFFF
	s_mul_i32 s82, s82, s71                                    // 000000009C78: 92524752
	s_mul_i32 s61, s60, s61                                    // 000000009C7C: 923D3D3C
	s_add_u32 s82, s82, s61                                    // 000000009C80: 80523D52
	v_mul_lo_u32 v6, v5, s82                                   // 000000009C84: D2850006 0000A505
	v_readlane_b32 s82, v3, 19                                 // 000000009C8C: D2890052 00012703
	s_lshr_b32 s61, s82, 24                                    // 000000009C94: 8F3D9852
	s_and_b32 s82, s82, 0xffffff                               // 000000009C98: 8652FF52 00FFFFFF
	s_mul_i32 s82, s82, s71                                    // 000000009CA0: 92524752
	s_mul_i32 s61, s60, s61                                    // 000000009CA4: 923D3D3C
	s_add_u32 s82, s82, s61                                    // 000000009CA8: 80523D52
	v_mul_lo_u32 v7, v4, s82                                   // 000000009CAC: D2850007 0000A504
	v_add_u32_e32 v69, v6, v7                                  // 000000009CB4: 688A0F06
	v_readlane_b32 s82, v3, 20                                 // 000000009CB8: D2890052 00012903
	s_lshr_b32 s61, s82, 24                                    // 000000009CC0: 8F3D9852
	s_and_b32 s82, s82, 0xffffff                               // 000000009CC4: 8652FF52 00FFFFFF
	s_mul_i32 s82, s82, s71                                    // 000000009CCC: 92524752
	s_mul_i32 s61, s60, s61                                    // 000000009CD0: 923D3D3C
	s_add_u32 s82, s82, s61                                    // 000000009CD4: 80523D52
	v_mul_lo_u32 v6, v5, s82                                   // 000000009CD8: D2850006 0000A505
	v_readlane_b32 s82, v3, 21                                 // 000000009CE0: D2890052 00012B03
	s_lshr_b32 s61, s82, 24                                    // 000000009CE8: 8F3D9852
	s_and_b32 s82, s82, 0xffffff                               // 000000009CEC: 8652FF52 00FFFFFF
	s_mul_i32 s82, s82, s71                                    // 000000009CF4: 92524752
	s_mul_i32 s61, s60, s61                                    // 000000009CF8: 923D3D3C
	s_add_u32 s82, s82, s61                                    // 000000009CFC: 80523D52
	v_mul_lo_u32 v7, v4, s82                                   // 000000009D00: D2850007 0000A504
	v_add_u32_e32 v70, v6, v7                                  // 000000009D08: 688C0F06
	v_readlane_b32 s82, v3, 22                                 // 000000009D0C: D2890052 00012D03
	s_lshr_b32 s61, s82, 24                                    // 000000009D14: 8F3D9852
	s_and_b32 s82, s82, 0xffffff                               // 000000009D18: 8652FF52 00FFFFFF
	s_mul_i32 s82, s82, s71                                    // 000000009D20: 92524752
	s_mul_i32 s61, s60, s61                                    // 000000009D24: 923D3D3C
	s_add_u32 s82, s82, s61                                    // 000000009D28: 80523D52
	v_mul_lo_u32 v6, v5, s82                                   // 000000009D2C: D2850006 0000A505
	v_readlane_b32 s82, v3, 23                                 // 000000009D34: D2890052 00012F03
	s_lshr_b32 s61, s82, 24                                    // 000000009D3C: 8F3D9852
	s_and_b32 s82, s82, 0xffffff                               // 000000009D40: 8652FF52 00FFFFFF
	s_mul_i32 s82, s82, s71                                    // 000000009D48: 92524752
	s_mul_i32 s61, s60, s61                                    // 000000009D4C: 923D3D3C
	s_add_u32 s82, s82, s61                                    // 000000009D50: 80523D52
	v_mul_lo_u32 v7, v4, s82                                   // 000000009D54: D2850007 0000A504
	v_add_u32_e32 v71, v6, v7                                  // 000000009D5C: 688E0F06
	v_readlane_b32 s82, v3, 24                                 // 000000009D60: D2890052 00013103
	s_lshr_b32 s61, s82, 24                                    // 000000009D68: 8F3D9852
	s_and_b32 s82, s82, 0xffffff                               // 000000009D6C: 8652FF52 00FFFFFF
	s_mul_i32 s82, s82, s71                                    // 000000009D74: 92524752
	s_mul_i32 s61, s60, s61                                    // 000000009D78: 923D3D3C
	s_add_u32 s82, s82, s61                                    // 000000009D7C: 80523D52
	v_mul_lo_u32 v6, v5, s82                                   // 000000009D80: D2850006 0000A505
	v_readlane_b32 s82, v3, 25                                 // 000000009D88: D2890052 00013303
	s_lshr_b32 s61, s82, 24                                    // 000000009D90: 8F3D9852
	s_and_b32 s82, s82, 0xffffff                               // 000000009D94: 8652FF52 00FFFFFF
	s_mul_i32 s82, s82, s71                                    // 000000009D9C: 92524752
	s_mul_i32 s61, s60, s61                                    // 000000009DA0: 923D3D3C
	s_add_u32 s82, s82, s61                                    // 000000009DA4: 80523D52
	v_mul_lo_u32 v7, v4, s82                                   // 000000009DA8: D2850007 0000A504
	v_add_u32_e32 v72, v6, v7                                  // 000000009DB0: 68900F06
	v_readlane_b32 s82, v3, 26                                 // 000000009DB4: D2890052 00013503
	s_lshr_b32 s61, s82, 24                                    // 000000009DBC: 8F3D9852
	s_and_b32 s82, s82, 0xffffff                               // 000000009DC0: 8652FF52 00FFFFFF
	s_mul_i32 s82, s82, s71                                    // 000000009DC8: 92524752
	s_mul_i32 s61, s60, s61                                    // 000000009DCC: 923D3D3C
	s_add_u32 s82, s82, s61                                    // 000000009DD0: 80523D52
	v_mul_lo_u32 v6, v5, s82                                   // 000000009DD4: D2850006 0000A505
	v_readlane_b32 s82, v3, 27                                 // 000000009DDC: D2890052 00013703
	s_lshr_b32 s61, s82, 24                                    // 000000009DE4: 8F3D9852
	s_and_b32 s82, s82, 0xffffff                               // 000000009DE8: 8652FF52 00FFFFFF
	s_mul_i32 s82, s82, s71                                    // 000000009DF0: 92524752
	s_mul_i32 s61, s60, s61                                    // 000000009DF4: 923D3D3C
	s_add_u32 s82, s82, s61                                    // 000000009DF8: 80523D52
	v_mul_lo_u32 v7, v4, s82                                   // 000000009DFC: D2850007 0000A504
	v_add_u32_e32 v73, v6, v7                                  // 000000009E04: 68920F06
	v_readlane_b32 s82, v3, 28                                 // 000000009E08: D2890052 00013903
	s_lshr_b32 s61, s82, 24                                    // 000000009E10: 8F3D9852
	s_and_b32 s82, s82, 0xffffff                               // 000000009E14: 8652FF52 00FFFFFF
	s_mul_i32 s82, s82, s71                                    // 000000009E1C: 92524752
	s_mul_i32 s61, s60, s61                                    // 000000009E20: 923D3D3C
	s_add_u32 s82, s82, s61                                    // 000000009E24: 80523D52
	v_mul_lo_u32 v6, v5, s82                                   // 000000009E28: D2850006 0000A505
	v_readlane_b32 s82, v3, 29                                 // 000000009E30: D2890052 00013B03
	s_lshr_b32 s61, s82, 24                                    // 000000009E38: 8F3D9852
	s_and_b32 s82, s82, 0xffffff                               // 000000009E3C: 8652FF52 00FFFFFF
	s_mul_i32 s82, s82, s71                                    // 000000009E44: 92524752
	s_mul_i32 s61, s60, s61                                    // 000000009E48: 923D3D3C
	s_add_u32 s82, s82, s61                                    // 000000009E4C: 80523D52
	v_mul_lo_u32 v7, v4, s82                                   // 000000009E50: D2850007 0000A504
	v_add_u32_e32 v74, v6, v7                                  // 000000009E58: 68940F06
	v_readlane_b32 s82, v3, 30                                 // 000000009E5C: D2890052 00013D03
	s_lshr_b32 s61, s82, 24                                    // 000000009E64: 8F3D9852
	s_and_b32 s82, s82, 0xffffff                               // 000000009E68: 8652FF52 00FFFFFF
	s_mul_i32 s82, s82, s71                                    // 000000009E70: 92524752
	s_mul_i32 s61, s60, s61                                    // 000000009E74: 923D3D3C
	s_add_u32 s82, s82, s61                                    // 000000009E78: 80523D52
	v_mul_lo_u32 v6, v5, s82                                   // 000000009E7C: D2850006 0000A505
	v_readlane_b32 s82, v3, 31                                 // 000000009E84: D2890052 00013F03
	s_lshr_b32 s61, s82, 24                                    // 000000009E8C: 8F3D9852
	s_and_b32 s82, s82, 0xffffff                               // 000000009E90: 8652FF52 00FFFFFF
	s_mul_i32 s82, s82, s71                                    // 000000009E98: 92524752
	s_mul_i32 s61, s60, s61                                    // 000000009E9C: 923D3D3C
	s_add_u32 s82, s82, s61                                    // 000000009EA0: 80523D52
	v_mul_lo_u32 v7, v4, s82                                   // 000000009EA4: D2850007 0000A504
	v_add_u32_e32 v75, v6, v7                                  // 000000009EAC: 68960F06
	v_and_b32_e32 v4, 31, v0                                   // 000000009EB0: 2608009F
	v_lshrrev_b32_e32 v4, 1, v4                                // 000000009EB4: 20080881
	s_cmp_eq_u32 s88, 0                                        // 000000009EB8: BF068058
	s_cselect_b32 s61, 2, 4                                    // 000000009EBC: 853D8482
	v_mul_lo_u32 v4, v4, s61                                   // 000000009EC0: D2850004 00007B04
	v_and_b32_e64 v5, v0, 1                                    // 000000009EC8: D1130005 00010300
	v_add_u32_e32 v4, v4, v5                                   // 000000009ED0: 68080B04
	v_lshlrev_b32_e32 v4, 2, v4                                // 000000009ED4: 24080882
	v_add_u32_e32 v60, v60, v4                                 // 000000009ED8: 6878093C
	v_add_u32_e32 v61, v61, v4                                 // 000000009EDC: 687A093D
	v_add_u32_e32 v62, v62, v4                                 // 000000009EE0: 687C093E
	v_add_u32_e32 v63, v63, v4                                 // 000000009EE4: 687E093F
	v_add_u32_e32 v64, v64, v4                                 // 000000009EE8: 68800940
	v_add_u32_e32 v65, v65, v4                                 // 000000009EEC: 68820941
	v_add_u32_e32 v66, v66, v4                                 // 000000009EF0: 68840942
	v_add_u32_e32 v67, v67, v4                                 // 000000009EF4: 68860943
	v_add_u32_e32 v68, v68, v4                                 // 000000009EF8: 68880944
	v_add_u32_e32 v69, v69, v4                                 // 000000009EFC: 688A0945
	v_add_u32_e32 v70, v70, v4                                 // 000000009F00: 688C0946
	v_add_u32_e32 v71, v71, v4                                 // 000000009F04: 688E0947
	v_add_u32_e32 v72, v72, v4                                 // 000000009F08: 68900948
	v_add_u32_e32 v73, v73, v4                                 // 000000009F0C: 68920949
	v_add_u32_e32 v74, v74, v4                                 // 000000009F10: 6894094A
	v_add_u32_e32 v75, v75, v4                                 // 000000009F14: 6896094B
	s_waitcnt lgkmcnt(0)                                       // 000000009F18: BF8CC07F
	s_barrier                                                  // 000000009F1C: BF8A0000
	ds_read_b32 v80, v21                                       // 000000009F20: D86C0000 50000015
	ds_read_b32 v81, v21 offset:64                             // 000000009F28: D86C0040 51000015
	ds_read_b32 v84, v21 offset:2176                           // 000000009F30: D86C0880 54000015
	ds_read_b32 v85, v21 offset:2240                           // 000000009F38: D86C08C0 55000015
	ds_read_b32 v88, v21 offset:4352                           // 000000009F40: D86C1100 58000015
	ds_read_b32 v89, v21 offset:4416                           // 000000009F48: D86C1140 59000015
	ds_read_b32 v92, v21 offset:6528                           // 000000009F50: D86C1980 5C000015
	ds_read_b32 v93, v21 offset:6592                           // 000000009F58: D86C19C0 5D000015
	ds_read_b32 v96, v21 offset:8704                           // 000000009F60: D86C2200 60000015
	ds_read_b32 v97, v21 offset:8768                           // 000000009F68: D86C2240 61000015
	ds_read_b32 v100, v21 offset:10880                         // 000000009F70: D86C2A80 64000015
	ds_read_b32 v101, v21 offset:10944                         // 000000009F78: D86C2AC0 65000015
	ds_read_b32 v104, v21 offset:13056                         // 000000009F80: D86C3300 68000015
	ds_read_b32 v105, v21 offset:13120                         // 000000009F88: D86C3340 69000015
	ds_read_b32 v108, v21 offset:15232                         // 000000009F90: D86C3B80 6C000015
	ds_read_b32 v109, v21 offset:15296                         // 000000009F98: D86C3BC0 6D000015
	s_waitcnt lgkmcnt(0)                                       // 000000009FA0: BF8CC07F
	s_mov_b32 s36, -1                                          // 000000009FA4: BEA400C1
	s_mov_b32 s37, -1                                          // 000000009FA8: BEA500C1
	v_mov_b32_e32 v7, 0                                        // 000000009FAC: 7E0E0280
	s_mov_b64 exec, s[36:37]                                   // 000000009FB0: BEFE0124
	v_mov_b32_e32 v6, v60                                      // 000000009FB4: 7E0C033C
	s_mov_b64 s[60:61], 0                                      // 000000009FB8: BEBC0180
	v_readlane_b32 s82, v3, 0                                  // 000000009FBC: D2890052 00010103
	s_and_b32 s82, s82, 0xffffff                               // 000000009FC4: 8652FF52 00FFFFFF
	s_cmp_lt_u32 s82, s66                                      // 000000009FCC: BF0A4252
	s_cselect_b32 s20, s36, s60                                // 000000009FD0: 85143C24
	v_readlane_b32 s82, v3, 1                                  // 000000009FD4: D2890052 00010303
	s_and_b32 s82, s82, 0xffffff                               // 000000009FDC: 8652FF52 00FFFFFF
	s_cmp_lt_u32 s82, s66                                      // 000000009FE4: BF0A4252
	s_cselect_b32 s21, s36, s60                                // 000000009FE8: 85153C24
	s_mov_b64 exec, s[20:21]                                   // 000000009FEC: BEFE0114
	global_atomic_add_f32 v6, v80, s[8:9]                      // 000000009FF0: DD348000 00085006
	s_mov_b64 exec, s[36:37]                                   // 000000009FF8: BEFE0124
	v_mov_b32_e32 v6, v61                                      // 000000009FFC: 7E0C033D
	s_mov_b64 s[60:61], 0                                      // 00000000A000: BEBC0180
	v_readlane_b32 s82, v3, 2                                  // 00000000A004: D2890052 00010503
	s_and_b32 s82, s82, 0xffffff                               // 00000000A00C: 8652FF52 00FFFFFF
	s_cmp_lt_u32 s82, s66                                      // 00000000A014: BF0A4252
	s_cselect_b32 s20, s36, s60                                // 00000000A018: 85143C24
	v_readlane_b32 s82, v3, 3                                  // 00000000A01C: D2890052 00010703
	s_and_b32 s82, s82, 0xffffff                               // 00000000A024: 8652FF52 00FFFFFF
	s_cmp_lt_u32 s82, s66                                      // 00000000A02C: BF0A4252
	s_cselect_b32 s21, s36, s60                                // 00000000A030: 85153C24
	s_mov_b64 exec, s[20:21]                                   // 00000000A034: BEFE0114
	global_atomic_add_f32 v6, v81, s[8:9]                      // 00000000A038: DD348000 00085106
	s_mov_b64 exec, s[36:37]                                   // 00000000A040: BEFE0124
	v_mov_b32_e32 v6, v62                                      // 00000000A044: 7E0C033E
	s_mov_b64 s[60:61], 0                                      // 00000000A048: BEBC0180
	v_readlane_b32 s82, v3, 4                                  // 00000000A04C: D2890052 00010903
	s_and_b32 s82, s82, 0xffffff                               // 00000000A054: 8652FF52 00FFFFFF
	s_cmp_lt_u32 s82, s66                                      // 00000000A05C: BF0A4252
	s_cselect_b32 s20, s36, s60                                // 00000000A060: 85143C24
	v_readlane_b32 s82, v3, 5                                  // 00000000A064: D2890052 00010B03
	s_and_b32 s82, s82, 0xffffff                               // 00000000A06C: 8652FF52 00FFFFFF
	s_cmp_lt_u32 s82, s66                                      // 00000000A074: BF0A4252
	s_cselect_b32 s21, s36, s60                                // 00000000A078: 85153C24
	s_mov_b64 exec, s[20:21]                                   // 00000000A07C: BEFE0114
	global_atomic_add_f32 v6, v84, s[8:9]                      // 00000000A080: DD348000 00085406
	s_mov_b64 exec, s[36:37]                                   // 00000000A088: BEFE0124
	v_mov_b32_e32 v6, v63                                      // 00000000A08C: 7E0C033F
	s_mov_b64 s[60:61], 0                                      // 00000000A090: BEBC0180
	v_readlane_b32 s82, v3, 6                                  // 00000000A094: D2890052 00010D03
	s_and_b32 s82, s82, 0xffffff                               // 00000000A09C: 8652FF52 00FFFFFF
	s_cmp_lt_u32 s82, s66                                      // 00000000A0A4: BF0A4252
	s_cselect_b32 s20, s36, s60                                // 00000000A0A8: 85143C24
	v_readlane_b32 s82, v3, 7                                  // 00000000A0AC: D2890052 00010F03
	s_and_b32 s82, s82, 0xffffff                               // 00000000A0B4: 8652FF52 00FFFFFF
	s_cmp_lt_u32 s82, s66                                      // 00000000A0BC: BF0A4252
	s_cselect_b32 s21, s36, s60                                // 00000000A0C0: 85153C24
	s_mov_b64 exec, s[20:21]                                   // 00000000A0C4: BEFE0114
	global_atomic_add_f32 v6, v85, s[8:9]                      // 00000000A0C8: DD348000 00085506
	s_mov_b64 exec, s[36:37]                                   // 00000000A0D0: BEFE0124
	v_mov_b32_e32 v6, v64                                      // 00000000A0D4: 7E0C0340
	s_mov_b64 s[60:61], 0                                      // 00000000A0D8: BEBC0180
	v_readlane_b32 s82, v3, 8                                  // 00000000A0DC: D2890052 00011103
	s_and_b32 s82, s82, 0xffffff                               // 00000000A0E4: 8652FF52 00FFFFFF
	s_cmp_lt_u32 s82, s66                                      // 00000000A0EC: BF0A4252
	s_cselect_b32 s20, s36, s60                                // 00000000A0F0: 85143C24
	v_readlane_b32 s82, v3, 9                                  // 00000000A0F4: D2890052 00011303
	s_and_b32 s82, s82, 0xffffff                               // 00000000A0FC: 8652FF52 00FFFFFF
	s_cmp_lt_u32 s82, s66                                      // 00000000A104: BF0A4252
	s_cselect_b32 s21, s36, s60                                // 00000000A108: 85153C24
	s_mov_b64 exec, s[20:21]                                   // 00000000A10C: BEFE0114
	global_atomic_add_f32 v6, v88, s[8:9]                      // 00000000A110: DD348000 00085806
	s_mov_b64 exec, s[36:37]                                   // 00000000A118: BEFE0124
	v_mov_b32_e32 v6, v65                                      // 00000000A11C: 7E0C0341
	s_mov_b64 s[60:61], 0                                      // 00000000A120: BEBC0180
	v_readlane_b32 s82, v3, 10                                 // 00000000A124: D2890052 00011503
	s_and_b32 s82, s82, 0xffffff                               // 00000000A12C: 8652FF52 00FFFFFF
	s_cmp_lt_u32 s82, s66                                      // 00000000A134: BF0A4252
	s_cselect_b32 s20, s36, s60                                // 00000000A138: 85143C24
	v_readlane_b32 s82, v3, 11                                 // 00000000A13C: D2890052 00011703
	s_and_b32 s82, s82, 0xffffff                               // 00000000A144: 8652FF52 00FFFFFF
	s_cmp_lt_u32 s82, s66                                      // 00000000A14C: BF0A4252
	s_cselect_b32 s21, s36, s60                                // 00000000A150: 85153C24
	s_mov_b64 exec, s[20:21]                                   // 00000000A154: BEFE0114
	global_atomic_add_f32 v6, v89, s[8:9]                      // 00000000A158: DD348000 00085906
	s_mov_b64 exec, s[36:37]                                   // 00000000A160: BEFE0124
	v_mov_b32_e32 v6, v66                                      // 00000000A164: 7E0C0342
	s_mov_b64 s[60:61], 0                                      // 00000000A168: BEBC0180
	v_readlane_b32 s82, v3, 12                                 // 00000000A16C: D2890052 00011903
	s_and_b32 s82, s82, 0xffffff                               // 00000000A174: 8652FF52 00FFFFFF
	s_cmp_lt_u32 s82, s66                                      // 00000000A17C: BF0A4252
	s_cselect_b32 s20, s36, s60                                // 00000000A180: 85143C24
	v_readlane_b32 s82, v3, 13                                 // 00000000A184: D2890052 00011B03
	s_and_b32 s82, s82, 0xffffff                               // 00000000A18C: 8652FF52 00FFFFFF
	s_cmp_lt_u32 s82, s66                                      // 00000000A194: BF0A4252
	s_cselect_b32 s21, s36, s60                                // 00000000A198: 85153C24
	s_mov_b64 exec, s[20:21]                                   // 00000000A19C: BEFE0114
	global_atomic_add_f32 v6, v92, s[8:9]                      // 00000000A1A0: DD348000 00085C06
	s_mov_b64 exec, s[36:37]                                   // 00000000A1A8: BEFE0124
	v_mov_b32_e32 v6, v67                                      // 00000000A1AC: 7E0C0343
	s_mov_b64 s[60:61], 0                                      // 00000000A1B0: BEBC0180
	v_readlane_b32 s82, v3, 14                                 // 00000000A1B4: D2890052 00011D03
	s_and_b32 s82, s82, 0xffffff                               // 00000000A1BC: 8652FF52 00FFFFFF
	s_cmp_lt_u32 s82, s66                                      // 00000000A1C4: BF0A4252
	s_cselect_b32 s20, s36, s60                                // 00000000A1C8: 85143C24
	v_readlane_b32 s82, v3, 15                                 // 00000000A1CC: D2890052 00011F03
	s_and_b32 s82, s82, 0xffffff                               // 00000000A1D4: 8652FF52 00FFFFFF
	s_cmp_lt_u32 s82, s66                                      // 00000000A1DC: BF0A4252
	s_cselect_b32 s21, s36, s60                                // 00000000A1E0: 85153C24
	s_mov_b64 exec, s[20:21]                                   // 00000000A1E4: BEFE0114
	global_atomic_add_f32 v6, v93, s[8:9]                      // 00000000A1E8: DD348000 00085D06
	s_mov_b64 exec, s[36:37]                                   // 00000000A1F0: BEFE0124
	v_mov_b32_e32 v6, v68                                      // 00000000A1F4: 7E0C0344
	s_mov_b64 s[60:61], 0                                      // 00000000A1F8: BEBC0180
	v_readlane_b32 s82, v3, 16                                 // 00000000A1FC: D2890052 00012103
	s_and_b32 s82, s82, 0xffffff                               // 00000000A204: 8652FF52 00FFFFFF
	s_cmp_lt_u32 s82, s66                                      // 00000000A20C: BF0A4252
	s_cselect_b32 s20, s36, s60                                // 00000000A210: 85143C24
	v_readlane_b32 s82, v3, 17                                 // 00000000A214: D2890052 00012303
	s_and_b32 s82, s82, 0xffffff                               // 00000000A21C: 8652FF52 00FFFFFF
	s_cmp_lt_u32 s82, s66                                      // 00000000A224: BF0A4252
	s_cselect_b32 s21, s36, s60                                // 00000000A228: 85153C24
	s_mov_b64 exec, s[20:21]                                   // 00000000A22C: BEFE0114
	global_atomic_add_f32 v6, v96, s[8:9]                      // 00000000A230: DD348000 00086006
	s_mov_b64 exec, s[36:37]                                   // 00000000A238: BEFE0124
	v_mov_b32_e32 v6, v69                                      // 00000000A23C: 7E0C0345
	s_mov_b64 s[60:61], 0                                      // 00000000A240: BEBC0180
	v_readlane_b32 s82, v3, 18                                 // 00000000A244: D2890052 00012503
	s_and_b32 s82, s82, 0xffffff                               // 00000000A24C: 8652FF52 00FFFFFF
	s_cmp_lt_u32 s82, s66                                      // 00000000A254: BF0A4252
	s_cselect_b32 s20, s36, s60                                // 00000000A258: 85143C24
	v_readlane_b32 s82, v3, 19                                 // 00000000A25C: D2890052 00012703
	s_and_b32 s82, s82, 0xffffff                               // 00000000A264: 8652FF52 00FFFFFF
	s_cmp_lt_u32 s82, s66                                      // 00000000A26C: BF0A4252
	s_cselect_b32 s21, s36, s60                                // 00000000A270: 85153C24
	s_mov_b64 exec, s[20:21]                                   // 00000000A274: BEFE0114
	global_atomic_add_f32 v6, v97, s[8:9]                      // 00000000A278: DD348000 00086106
	s_mov_b64 exec, s[36:37]                                   // 00000000A280: BEFE0124
	v_mov_b32_e32 v6, v70                                      // 00000000A284: 7E0C0346
	s_mov_b64 s[60:61], 0                                      // 00000000A288: BEBC0180
	v_readlane_b32 s82, v3, 20                                 // 00000000A28C: D2890052 00012903
	s_and_b32 s82, s82, 0xffffff                               // 00000000A294: 8652FF52 00FFFFFF
	s_cmp_lt_u32 s82, s66                                      // 00000000A29C: BF0A4252
	s_cselect_b32 s20, s36, s60                                // 00000000A2A0: 85143C24
	v_readlane_b32 s82, v3, 21                                 // 00000000A2A4: D2890052 00012B03
	s_and_b32 s82, s82, 0xffffff                               // 00000000A2AC: 8652FF52 00FFFFFF
	s_cmp_lt_u32 s82, s66                                      // 00000000A2B4: BF0A4252
	s_cselect_b32 s21, s36, s60                                // 00000000A2B8: 85153C24
	s_mov_b64 exec, s[20:21]                                   // 00000000A2BC: BEFE0114
	global_atomic_add_f32 v6, v100, s[8:9]                     // 00000000A2C0: DD348000 00086406
	s_mov_b64 exec, s[36:37]                                   // 00000000A2C8: BEFE0124
	v_mov_b32_e32 v6, v71                                      // 00000000A2CC: 7E0C0347
	s_mov_b64 s[60:61], 0                                      // 00000000A2D0: BEBC0180
	v_readlane_b32 s82, v3, 22                                 // 00000000A2D4: D2890052 00012D03
	s_and_b32 s82, s82, 0xffffff                               // 00000000A2DC: 8652FF52 00FFFFFF
	s_cmp_lt_u32 s82, s66                                      // 00000000A2E4: BF0A4252
	s_cselect_b32 s20, s36, s60                                // 00000000A2E8: 85143C24
	v_readlane_b32 s82, v3, 23                                 // 00000000A2EC: D2890052 00012F03
	s_and_b32 s82, s82, 0xffffff                               // 00000000A2F4: 8652FF52 00FFFFFF
	s_cmp_lt_u32 s82, s66                                      // 00000000A2FC: BF0A4252
	s_cselect_b32 s21, s36, s60                                // 00000000A300: 85153C24
	s_mov_b64 exec, s[20:21]                                   // 00000000A304: BEFE0114
	global_atomic_add_f32 v6, v101, s[8:9]                     // 00000000A308: DD348000 00086506
	s_mov_b64 exec, s[36:37]                                   // 00000000A310: BEFE0124
	v_mov_b32_e32 v6, v72                                      // 00000000A314: 7E0C0348
	s_mov_b64 s[60:61], 0                                      // 00000000A318: BEBC0180
	v_readlane_b32 s82, v3, 24                                 // 00000000A31C: D2890052 00013103
	s_and_b32 s82, s82, 0xffffff                               // 00000000A324: 8652FF52 00FFFFFF
	s_cmp_lt_u32 s82, s66                                      // 00000000A32C: BF0A4252
	s_cselect_b32 s20, s36, s60                                // 00000000A330: 85143C24
	v_readlane_b32 s82, v3, 25                                 // 00000000A334: D2890052 00013303
	s_and_b32 s82, s82, 0xffffff                               // 00000000A33C: 8652FF52 00FFFFFF
	s_cmp_lt_u32 s82, s66                                      // 00000000A344: BF0A4252
	s_cselect_b32 s21, s36, s60                                // 00000000A348: 85153C24
	s_mov_b64 exec, s[20:21]                                   // 00000000A34C: BEFE0114
	global_atomic_add_f32 v6, v104, s[8:9]                     // 00000000A350: DD348000 00086806
	s_mov_b64 exec, s[36:37]                                   // 00000000A358: BEFE0124
	v_mov_b32_e32 v6, v73                                      // 00000000A35C: 7E0C0349
	s_mov_b64 s[60:61], 0                                      // 00000000A360: BEBC0180
	v_readlane_b32 s82, v3, 26                                 // 00000000A364: D2890052 00013503
	s_and_b32 s82, s82, 0xffffff                               // 00000000A36C: 8652FF52 00FFFFFF
	s_cmp_lt_u32 s82, s66                                      // 00000000A374: BF0A4252
	s_cselect_b32 s20, s36, s60                                // 00000000A378: 85143C24
	v_readlane_b32 s82, v3, 27                                 // 00000000A37C: D2890052 00013703
	s_and_b32 s82, s82, 0xffffff                               // 00000000A384: 8652FF52 00FFFFFF
	s_cmp_lt_u32 s82, s66                                      // 00000000A38C: BF0A4252
	s_cselect_b32 s21, s36, s60                                // 00000000A390: 85153C24
	s_mov_b64 exec, s[20:21]                                   // 00000000A394: BEFE0114
	global_atomic_add_f32 v6, v105, s[8:9]                     // 00000000A398: DD348000 00086906
	s_mov_b64 exec, s[36:37]                                   // 00000000A3A0: BEFE0124
	v_mov_b32_e32 v6, v74                                      // 00000000A3A4: 7E0C034A
	s_mov_b64 s[60:61], 0                                      // 00000000A3A8: BEBC0180
	v_readlane_b32 s82, v3, 28                                 // 00000000A3AC: D2890052 00013903
	s_and_b32 s82, s82, 0xffffff                               // 00000000A3B4: 8652FF52 00FFFFFF
	s_cmp_lt_u32 s82, s66                                      // 00000000A3BC: BF0A4252
	s_cselect_b32 s20, s36, s60                                // 00000000A3C0: 85143C24
	v_readlane_b32 s82, v3, 29                                 // 00000000A3C4: D2890052 00013B03
	s_and_b32 s82, s82, 0xffffff                               // 00000000A3CC: 8652FF52 00FFFFFF
	s_cmp_lt_u32 s82, s66                                      // 00000000A3D4: BF0A4252
	s_cselect_b32 s21, s36, s60                                // 00000000A3D8: 85153C24
	s_mov_b64 exec, s[20:21]                                   // 00000000A3DC: BEFE0114
	global_atomic_add_f32 v6, v108, s[8:9]                     // 00000000A3E0: DD348000 00086C06
	s_mov_b64 exec, s[36:37]                                   // 00000000A3E8: BEFE0124
	v_mov_b32_e32 v6, v75                                      // 00000000A3EC: 7E0C034B
	s_mov_b64 s[60:61], 0                                      // 00000000A3F0: BEBC0180
	v_readlane_b32 s82, v3, 30                                 // 00000000A3F4: D2890052 00013D03
	s_and_b32 s82, s82, 0xffffff                               // 00000000A3FC: 8652FF52 00FFFFFF
	s_cmp_lt_u32 s82, s66                                      // 00000000A404: BF0A4252
	s_cselect_b32 s20, s36, s60                                // 00000000A408: 85143C24
	v_readlane_b32 s82, v3, 31                                 // 00000000A40C: D2890052 00013F03
	s_and_b32 s82, s82, 0xffffff                               // 00000000A414: 8652FF52 00FFFFFF
	s_cmp_lt_u32 s82, s66                                      // 00000000A41C: BF0A4252
	s_cselect_b32 s21, s36, s60                                // 00000000A420: 85153C24
	s_mov_b64 exec, s[20:21]                                   // 00000000A424: BEFE0114
	global_atomic_add_f32 v6, v109, s[8:9]                     // 00000000A428: DD348000 00086D06
	s_mov_b64 exec, s[36:37]                                   // 00000000A430: BEFE0124
	ds_write_b64 v20, v[82:83]                                 // 00000000A434: D89A0000 00005214
	ds_write_b64 v20, v[86:87] offset:2176                     // 00000000A43C: D89A0880 00005614
	ds_write_b64 v20, v[90:91] offset:4352                     // 00000000A444: D89A1100 00005A14
	ds_write_b64 v20, v[94:95] offset:6528                     // 00000000A44C: D89A1980 00005E14
	ds_write_b64 v20, v[98:99] offset:8704                     // 00000000A454: D89A2200 00006214
	ds_write_b64 v20, v[102:103] offset:10880                  // 00000000A45C: D89A2A80 00006614
	ds_write_b64 v20, v[106:107] offset:13056                  // 00000000A464: D89A3300 00006A14
	ds_write_b64 v20, v[110:111] offset:15232                  // 00000000A46C: D89A3B80 00006E14
	s_waitcnt lgkmcnt(0)                                       // 00000000A474: BF8CC07F
	s_barrier                                                  // 00000000A478: BF8A0000
	ds_read_b32 v82, v21                                       // 00000000A47C: D86C0000 52000015
	ds_read_b32 v83, v21 offset:64                             // 00000000A484: D86C0040 53000015
	ds_read_b32 v86, v21 offset:2176                           // 00000000A48C: D86C0880 56000015
	ds_read_b32 v87, v21 offset:2240                           // 00000000A494: D86C08C0 57000015
	ds_read_b32 v90, v21 offset:4352                           // 00000000A49C: D86C1100 5A000015
	ds_read_b32 v91, v21 offset:4416                           // 00000000A4A4: D86C1140 5B000015
	ds_read_b32 v94, v21 offset:6528                           // 00000000A4AC: D86C1980 5E000015
	ds_read_b32 v95, v21 offset:6592                           // 00000000A4B4: D86C19C0 5F000015
	ds_read_b32 v98, v21 offset:8704                           // 00000000A4BC: D86C2200 62000015
	ds_read_b32 v99, v21 offset:8768                           // 00000000A4C4: D86C2240 63000015
	ds_read_b32 v102, v21 offset:10880                         // 00000000A4CC: D86C2A80 66000015
	ds_read_b32 v103, v21 offset:10944                         // 00000000A4D4: D86C2AC0 67000015
	ds_read_b32 v106, v21 offset:13056                         // 00000000A4DC: D86C3300 6A000015
	ds_read_b32 v107, v21 offset:13120                         // 00000000A4E4: D86C3340 6B000015
	ds_read_b32 v110, v21 offset:15232                         // 00000000A4EC: D86C3B80 6E000015
	ds_read_b32 v111, v21 offset:15296                         // 00000000A4F4: D86C3BC0 6F000015
	s_waitcnt lgkmcnt(0)                                       // 00000000A4FC: BF8CC07F
	v_mov_b32_e32 v7, 0                                        // 00000000A500: 7E0E0280
	s_mov_b64 exec, s[36:37]                                   // 00000000A504: BEFE0124
	v_mov_b32_e32 v6, v60                                      // 00000000A508: 7E0C033C
	s_mov_b64 s[60:61], 0                                      // 00000000A50C: BEBC0180
	v_readlane_b32 s82, v3, 0                                  // 00000000A510: D2890052 00010103
	s_and_b32 s82, s82, 0xffffff                               // 00000000A518: 8652FF52 00FFFFFF
	s_cmp_lt_u32 s82, s66                                      // 00000000A520: BF0A4252
	s_cselect_b32 s20, s36, s60                                // 00000000A524: 85143C24
	v_readlane_b32 s82, v3, 1                                  // 00000000A528: D2890052 00010303
	s_and_b32 s82, s82, 0xffffff                               // 00000000A530: 8652FF52 00FFFFFF
	s_cmp_lt_u32 s82, s66                                      // 00000000A538: BF0A4252
	s_cselect_b32 s21, s36, s60                                // 00000000A53C: 85153C24
	s_mov_b64 exec, s[20:21]                                   // 00000000A540: BEFE0114
	global_atomic_add_f32 v6, v82, s[8:9] offset:8             // 00000000A544: DD348008 00085206
	s_mov_b64 exec, s[36:37]                                   // 00000000A54C: BEFE0124
	v_mov_b32_e32 v6, v61                                      // 00000000A550: 7E0C033D
	s_mov_b64 s[60:61], 0                                      // 00000000A554: BEBC0180
	v_readlane_b32 s82, v3, 2                                  // 00000000A558: D2890052 00010503
	s_and_b32 s82, s82, 0xffffff                               // 00000000A560: 8652FF52 00FFFFFF
	s_cmp_lt_u32 s82, s66                                      // 00000000A568: BF0A4252
	s_cselect_b32 s20, s36, s60                                // 00000000A56C: 85143C24
	v_readlane_b32 s82, v3, 3                                  // 00000000A570: D2890052 00010703
	s_and_b32 s82, s82, 0xffffff                               // 00000000A578: 8652FF52 00FFFFFF
	s_cmp_lt_u32 s82, s66                                      // 00000000A580: BF0A4252
	s_cselect_b32 s21, s36, s60                                // 00000000A584: 85153C24
	s_mov_b64 exec, s[20:21]                                   // 00000000A588: BEFE0114
	global_atomic_add_f32 v6, v83, s[8:9] offset:8             // 00000000A58C: DD348008 00085306
	s_mov_b64 exec, s[36:37]                                   // 00000000A594: BEFE0124
	v_mov_b32_e32 v6, v62                                      // 00000000A598: 7E0C033E
	s_mov_b64 s[60:61], 0                                      // 00000000A59C: BEBC0180
	v_readlane_b32 s82, v3, 4                                  // 00000000A5A0: D2890052 00010903
	s_and_b32 s82, s82, 0xffffff                               // 00000000A5A8: 8652FF52 00FFFFFF
	s_cmp_lt_u32 s82, s66                                      // 00000000A5B0: BF0A4252
	s_cselect_b32 s20, s36, s60                                // 00000000A5B4: 85143C24
	v_readlane_b32 s82, v3, 5                                  // 00000000A5B8: D2890052 00010B03
	s_and_b32 s82, s82, 0xffffff                               // 00000000A5C0: 8652FF52 00FFFFFF
	s_cmp_lt_u32 s82, s66                                      // 00000000A5C8: BF0A4252
	s_cselect_b32 s21, s36, s60                                // 00000000A5CC: 85153C24
	s_mov_b64 exec, s[20:21]                                   // 00000000A5D0: BEFE0114
	global_atomic_add_f32 v6, v86, s[8:9] offset:8             // 00000000A5D4: DD348008 00085606
	s_mov_b64 exec, s[36:37]                                   // 00000000A5DC: BEFE0124
	v_mov_b32_e32 v6, v63                                      // 00000000A5E0: 7E0C033F
	s_mov_b64 s[60:61], 0                                      // 00000000A5E4: BEBC0180
	v_readlane_b32 s82, v3, 6                                  // 00000000A5E8: D2890052 00010D03
	s_and_b32 s82, s82, 0xffffff                               // 00000000A5F0: 8652FF52 00FFFFFF
	s_cmp_lt_u32 s82, s66                                      // 00000000A5F8: BF0A4252
	s_cselect_b32 s20, s36, s60                                // 00000000A5FC: 85143C24
	v_readlane_b32 s82, v3, 7                                  // 00000000A600: D2890052 00010F03
	s_and_b32 s82, s82, 0xffffff                               // 00000000A608: 8652FF52 00FFFFFF
	s_cmp_lt_u32 s82, s66                                      // 00000000A610: BF0A4252
	s_cselect_b32 s21, s36, s60                                // 00000000A614: 85153C24
	s_mov_b64 exec, s[20:21]                                   // 00000000A618: BEFE0114
	global_atomic_add_f32 v6, v87, s[8:9] offset:8             // 00000000A61C: DD348008 00085706
	s_mov_b64 exec, s[36:37]                                   // 00000000A624: BEFE0124
	v_mov_b32_e32 v6, v64                                      // 00000000A628: 7E0C0340
	s_mov_b64 s[60:61], 0                                      // 00000000A62C: BEBC0180
	v_readlane_b32 s82, v3, 8                                  // 00000000A630: D2890052 00011103
	s_and_b32 s82, s82, 0xffffff                               // 00000000A638: 8652FF52 00FFFFFF
	s_cmp_lt_u32 s82, s66                                      // 00000000A640: BF0A4252
	s_cselect_b32 s20, s36, s60                                // 00000000A644: 85143C24
	v_readlane_b32 s82, v3, 9                                  // 00000000A648: D2890052 00011303
	s_and_b32 s82, s82, 0xffffff                               // 00000000A650: 8652FF52 00FFFFFF
	s_cmp_lt_u32 s82, s66                                      // 00000000A658: BF0A4252
	s_cselect_b32 s21, s36, s60                                // 00000000A65C: 85153C24
	s_mov_b64 exec, s[20:21]                                   // 00000000A660: BEFE0114
	global_atomic_add_f32 v6, v90, s[8:9] offset:8             // 00000000A664: DD348008 00085A06
	s_mov_b64 exec, s[36:37]                                   // 00000000A66C: BEFE0124
	v_mov_b32_e32 v6, v65                                      // 00000000A670: 7E0C0341
	s_mov_b64 s[60:61], 0                                      // 00000000A674: BEBC0180
	v_readlane_b32 s82, v3, 10                                 // 00000000A678: D2890052 00011503
	s_and_b32 s82, s82, 0xffffff                               // 00000000A680: 8652FF52 00FFFFFF
	s_cmp_lt_u32 s82, s66                                      // 00000000A688: BF0A4252
	s_cselect_b32 s20, s36, s60                                // 00000000A68C: 85143C24
	v_readlane_b32 s82, v3, 11                                 // 00000000A690: D2890052 00011703
	s_and_b32 s82, s82, 0xffffff                               // 00000000A698: 8652FF52 00FFFFFF
	s_cmp_lt_u32 s82, s66                                      // 00000000A6A0: BF0A4252
	s_cselect_b32 s21, s36, s60                                // 00000000A6A4: 85153C24
	s_mov_b64 exec, s[20:21]                                   // 00000000A6A8: BEFE0114
	global_atomic_add_f32 v6, v91, s[8:9] offset:8             // 00000000A6AC: DD348008 00085B06
	s_mov_b64 exec, s[36:37]                                   // 00000000A6B4: BEFE0124
	v_mov_b32_e32 v6, v66                                      // 00000000A6B8: 7E0C0342
	s_mov_b64 s[60:61], 0                                      // 00000000A6BC: BEBC0180
	v_readlane_b32 s82, v3, 12                                 // 00000000A6C0: D2890052 00011903
	s_and_b32 s82, s82, 0xffffff                               // 00000000A6C8: 8652FF52 00FFFFFF
	s_cmp_lt_u32 s82, s66                                      // 00000000A6D0: BF0A4252
	s_cselect_b32 s20, s36, s60                                // 00000000A6D4: 85143C24
	v_readlane_b32 s82, v3, 13                                 // 00000000A6D8: D2890052 00011B03
	s_and_b32 s82, s82, 0xffffff                               // 00000000A6E0: 8652FF52 00FFFFFF
	s_cmp_lt_u32 s82, s66                                      // 00000000A6E8: BF0A4252
	s_cselect_b32 s21, s36, s60                                // 00000000A6EC: 85153C24
	s_mov_b64 exec, s[20:21]                                   // 00000000A6F0: BEFE0114
	global_atomic_add_f32 v6, v94, s[8:9] offset:8             // 00000000A6F4: DD348008 00085E06
	s_mov_b64 exec, s[36:37]                                   // 00000000A6FC: BEFE0124
	v_mov_b32_e32 v6, v67                                      // 00000000A700: 7E0C0343
	s_mov_b64 s[60:61], 0                                      // 00000000A704: BEBC0180
	v_readlane_b32 s82, v3, 14                                 // 00000000A708: D2890052 00011D03
	s_and_b32 s82, s82, 0xffffff                               // 00000000A710: 8652FF52 00FFFFFF
	s_cmp_lt_u32 s82, s66                                      // 00000000A718: BF0A4252
	s_cselect_b32 s20, s36, s60                                // 00000000A71C: 85143C24
	v_readlane_b32 s82, v3, 15                                 // 00000000A720: D2890052 00011F03
	s_and_b32 s82, s82, 0xffffff                               // 00000000A728: 8652FF52 00FFFFFF
	s_cmp_lt_u32 s82, s66                                      // 00000000A730: BF0A4252
	s_cselect_b32 s21, s36, s60                                // 00000000A734: 85153C24
	s_mov_b64 exec, s[20:21]                                   // 00000000A738: BEFE0114
	global_atomic_add_f32 v6, v95, s[8:9] offset:8             // 00000000A73C: DD348008 00085F06
	s_mov_b64 exec, s[36:37]                                   // 00000000A744: BEFE0124
	v_mov_b32_e32 v6, v68                                      // 00000000A748: 7E0C0344
	s_mov_b64 s[60:61], 0                                      // 00000000A74C: BEBC0180
	v_readlane_b32 s82, v3, 16                                 // 00000000A750: D2890052 00012103
	s_and_b32 s82, s82, 0xffffff                               // 00000000A758: 8652FF52 00FFFFFF
	s_cmp_lt_u32 s82, s66                                      // 00000000A760: BF0A4252
	s_cselect_b32 s20, s36, s60                                // 00000000A764: 85143C24
	v_readlane_b32 s82, v3, 17                                 // 00000000A768: D2890052 00012303
	s_and_b32 s82, s82, 0xffffff                               // 00000000A770: 8652FF52 00FFFFFF
	s_cmp_lt_u32 s82, s66                                      // 00000000A778: BF0A4252
	s_cselect_b32 s21, s36, s60                                // 00000000A77C: 85153C24
	s_mov_b64 exec, s[20:21]                                   // 00000000A780: BEFE0114
	global_atomic_add_f32 v6, v98, s[8:9] offset:8             // 00000000A784: DD348008 00086206
	s_mov_b64 exec, s[36:37]                                   // 00000000A78C: BEFE0124
	v_mov_b32_e32 v6, v69                                      // 00000000A790: 7E0C0345
	s_mov_b64 s[60:61], 0                                      // 00000000A794: BEBC0180
	v_readlane_b32 s82, v3, 18                                 // 00000000A798: D2890052 00012503
	s_and_b32 s82, s82, 0xffffff                               // 00000000A7A0: 8652FF52 00FFFFFF
	s_cmp_lt_u32 s82, s66                                      // 00000000A7A8: BF0A4252
	s_cselect_b32 s20, s36, s60                                // 00000000A7AC: 85143C24
	v_readlane_b32 s82, v3, 19                                 // 00000000A7B0: D2890052 00012703
	s_and_b32 s82, s82, 0xffffff                               // 00000000A7B8: 8652FF52 00FFFFFF
	s_cmp_lt_u32 s82, s66                                      // 00000000A7C0: BF0A4252
	s_cselect_b32 s21, s36, s60                                // 00000000A7C4: 85153C24
	s_mov_b64 exec, s[20:21]                                   // 00000000A7C8: BEFE0114
	global_atomic_add_f32 v6, v99, s[8:9] offset:8             // 00000000A7CC: DD348008 00086306
	s_mov_b64 exec, s[36:37]                                   // 00000000A7D4: BEFE0124
	v_mov_b32_e32 v6, v70                                      // 00000000A7D8: 7E0C0346
	s_mov_b64 s[60:61], 0                                      // 00000000A7DC: BEBC0180
	v_readlane_b32 s82, v3, 20                                 // 00000000A7E0: D2890052 00012903
	s_and_b32 s82, s82, 0xffffff                               // 00000000A7E8: 8652FF52 00FFFFFF
	s_cmp_lt_u32 s82, s66                                      // 00000000A7F0: BF0A4252
	s_cselect_b32 s20, s36, s60                                // 00000000A7F4: 85143C24
	v_readlane_b32 s82, v3, 21                                 // 00000000A7F8: D2890052 00012B03
	s_and_b32 s82, s82, 0xffffff                               // 00000000A800: 8652FF52 00FFFFFF
	s_cmp_lt_u32 s82, s66                                      // 00000000A808: BF0A4252
	s_cselect_b32 s21, s36, s60                                // 00000000A80C: 85153C24
	s_mov_b64 exec, s[20:21]                                   // 00000000A810: BEFE0114
	global_atomic_add_f32 v6, v102, s[8:9] offset:8            // 00000000A814: DD348008 00086606
	s_mov_b64 exec, s[36:37]                                   // 00000000A81C: BEFE0124
	v_mov_b32_e32 v6, v71                                      // 00000000A820: 7E0C0347
	s_mov_b64 s[60:61], 0                                      // 00000000A824: BEBC0180
	v_readlane_b32 s82, v3, 22                                 // 00000000A828: D2890052 00012D03
	s_and_b32 s82, s82, 0xffffff                               // 00000000A830: 8652FF52 00FFFFFF
	s_cmp_lt_u32 s82, s66                                      // 00000000A838: BF0A4252
	s_cselect_b32 s20, s36, s60                                // 00000000A83C: 85143C24
	v_readlane_b32 s82, v3, 23                                 // 00000000A840: D2890052 00012F03
	s_and_b32 s82, s82, 0xffffff                               // 00000000A848: 8652FF52 00FFFFFF
	s_cmp_lt_u32 s82, s66                                      // 00000000A850: BF0A4252
	s_cselect_b32 s21, s36, s60                                // 00000000A854: 85153C24
	s_mov_b64 exec, s[20:21]                                   // 00000000A858: BEFE0114
	global_atomic_add_f32 v6, v103, s[8:9] offset:8            // 00000000A85C: DD348008 00086706
	s_mov_b64 exec, s[36:37]                                   // 00000000A864: BEFE0124
	v_mov_b32_e32 v6, v72                                      // 00000000A868: 7E0C0348
	s_mov_b64 s[60:61], 0                                      // 00000000A86C: BEBC0180
	v_readlane_b32 s82, v3, 24                                 // 00000000A870: D2890052 00013103
	s_and_b32 s82, s82, 0xffffff                               // 00000000A878: 8652FF52 00FFFFFF
	s_cmp_lt_u32 s82, s66                                      // 00000000A880: BF0A4252
	s_cselect_b32 s20, s36, s60                                // 00000000A884: 85143C24
	v_readlane_b32 s82, v3, 25                                 // 00000000A888: D2890052 00013303
	s_and_b32 s82, s82, 0xffffff                               // 00000000A890: 8652FF52 00FFFFFF
	s_cmp_lt_u32 s82, s66                                      // 00000000A898: BF0A4252
	s_cselect_b32 s21, s36, s60                                // 00000000A89C: 85153C24
	s_mov_b64 exec, s[20:21]                                   // 00000000A8A0: BEFE0114
	global_atomic_add_f32 v6, v106, s[8:9] offset:8            // 00000000A8A4: DD348008 00086A06
	s_mov_b64 exec, s[36:37]                                   // 00000000A8AC: BEFE0124
	v_mov_b32_e32 v6, v73                                      // 00000000A8B0: 7E0C0349
	s_mov_b64 s[60:61], 0                                      // 00000000A8B4: BEBC0180
	v_readlane_b32 s82, v3, 26                                 // 00000000A8B8: D2890052 00013503
	s_and_b32 s82, s82, 0xffffff                               // 00000000A8C0: 8652FF52 00FFFFFF
	s_cmp_lt_u32 s82, s66                                      // 00000000A8C8: BF0A4252
	s_cselect_b32 s20, s36, s60                                // 00000000A8CC: 85143C24
	v_readlane_b32 s82, v3, 27                                 // 00000000A8D0: D2890052 00013703
	s_and_b32 s82, s82, 0xffffff                               // 00000000A8D8: 8652FF52 00FFFFFF
	s_cmp_lt_u32 s82, s66                                      // 00000000A8E0: BF0A4252
	s_cselect_b32 s21, s36, s60                                // 00000000A8E4: 85153C24
	s_mov_b64 exec, s[20:21]                                   // 00000000A8E8: BEFE0114
	global_atomic_add_f32 v6, v107, s[8:9] offset:8            // 00000000A8EC: DD348008 00086B06
	s_mov_b64 exec, s[36:37]                                   // 00000000A8F4: BEFE0124
	v_mov_b32_e32 v6, v74                                      // 00000000A8F8: 7E0C034A
	s_mov_b64 s[60:61], 0                                      // 00000000A8FC: BEBC0180
	v_readlane_b32 s82, v3, 28                                 // 00000000A900: D2890052 00013903
	s_and_b32 s82, s82, 0xffffff                               // 00000000A908: 8652FF52 00FFFFFF
	s_cmp_lt_u32 s82, s66                                      // 00000000A910: BF0A4252
	s_cselect_b32 s20, s36, s60                                // 00000000A914: 85143C24
	v_readlane_b32 s82, v3, 29                                 // 00000000A918: D2890052 00013B03
	s_and_b32 s82, s82, 0xffffff                               // 00000000A920: 8652FF52 00FFFFFF
	s_cmp_lt_u32 s82, s66                                      // 00000000A928: BF0A4252
	s_cselect_b32 s21, s36, s60                                // 00000000A92C: 85153C24
	s_mov_b64 exec, s[20:21]                                   // 00000000A930: BEFE0114
	global_atomic_add_f32 v6, v110, s[8:9] offset:8            // 00000000A934: DD348008 00086E06
	s_mov_b64 exec, s[36:37]                                   // 00000000A93C: BEFE0124
	v_mov_b32_e32 v6, v75                                      // 00000000A940: 7E0C034B
	s_mov_b64 s[60:61], 0                                      // 00000000A944: BEBC0180
	v_readlane_b32 s82, v3, 30                                 // 00000000A948: D2890052 00013D03
	s_and_b32 s82, s82, 0xffffff                               // 00000000A950: 8652FF52 00FFFFFF
	s_cmp_lt_u32 s82, s66                                      // 00000000A958: BF0A4252
	s_cselect_b32 s20, s36, s60                                // 00000000A95C: 85143C24
	v_readlane_b32 s82, v3, 31                                 // 00000000A960: D2890052 00013F03
	s_and_b32 s82, s82, 0xffffff                               // 00000000A968: 8652FF52 00FFFFFF
	s_cmp_lt_u32 s82, s66                                      // 00000000A970: BF0A4252
	s_cselect_b32 s21, s36, s60                                // 00000000A974: 85153C24
	s_mov_b64 exec, s[20:21]                                   // 00000000A978: BEFE0114
	global_atomic_add_f32 v6, v111, s[8:9] offset:8            // 00000000A97C: DD348008 00086F06
	s_mov_b64 exec, s[36:37]                                   // 00000000A984: BEFE0124
	ds_write_b64 v20, v[112:113]                               // 00000000A988: D89A0000 00007014
	ds_write_b64 v20, v[116:117] offset:2176                   // 00000000A990: D89A0880 00007414
	ds_write_b64 v20, v[120:121] offset:4352                   // 00000000A998: D89A1100 00007814
	ds_write_b64 v20, v[124:125] offset:6528                   // 00000000A9A0: D89A1980 00007C14
	ds_write_b64 v20, v[128:129] offset:8704                   // 00000000A9A8: D89A2200 00008014
	ds_write_b64 v20, v[132:133] offset:10880                  // 00000000A9B0: D89A2A80 00008414
	ds_write_b64 v20, v[136:137] offset:13056                  // 00000000A9B8: D89A3300 00008814
	ds_write_b64 v20, v[140:141] offset:15232                  // 00000000A9C0: D89A3B80 00008C14
	s_waitcnt lgkmcnt(0)                                       // 00000000A9C8: BF8CC07F
	s_barrier                                                  // 00000000A9CC: BF8A0000
	ds_read_b32 v112, v21                                      // 00000000A9D0: D86C0000 70000015
	ds_read_b32 v113, v21 offset:64                            // 00000000A9D8: D86C0040 71000015
	ds_read_b32 v116, v21 offset:2176                          // 00000000A9E0: D86C0880 74000015
	ds_read_b32 v117, v21 offset:2240                          // 00000000A9E8: D86C08C0 75000015
	ds_read_b32 v120, v21 offset:4352                          // 00000000A9F0: D86C1100 78000015
	ds_read_b32 v121, v21 offset:4416                          // 00000000A9F8: D86C1140 79000015
	ds_read_b32 v124, v21 offset:6528                          // 00000000AA00: D86C1980 7C000015
	ds_read_b32 v125, v21 offset:6592                          // 00000000AA08: D86C19C0 7D000015
	ds_read_b32 v128, v21 offset:8704                          // 00000000AA10: D86C2200 80000015
	ds_read_b32 v129, v21 offset:8768                          // 00000000AA18: D86C2240 81000015
	ds_read_b32 v132, v21 offset:10880                         // 00000000AA20: D86C2A80 84000015
	ds_read_b32 v133, v21 offset:10944                         // 00000000AA28: D86C2AC0 85000015
	ds_read_b32 v136, v21 offset:13056                         // 00000000AA30: D86C3300 88000015
	ds_read_b32 v137, v21 offset:13120                         // 00000000AA38: D86C3340 89000015
	ds_read_b32 v140, v21 offset:15232                         // 00000000AA40: D86C3B80 8C000015
	ds_read_b32 v141, v21 offset:15296                         // 00000000AA48: D86C3BC0 8D000015
	s_mul_i32 s60, s65, 4                                      // 00000000AA50: 923C8441
	s_add_u32 s8, s60, s8                                      // 00000000AA54: 8008083C
	s_addc_u32 s9, 0, s9                                       // 00000000AA58: 82090980
	s_waitcnt lgkmcnt(0)                                       // 00000000AA5C: BF8CC07F
	v_mov_b32_e32 v7, 0                                        // 00000000AA60: 7E0E0280
	s_mov_b64 exec, s[36:37]                                   // 00000000AA64: BEFE0124
	v_mov_b32_e32 v6, v60                                      // 00000000AA68: 7E0C033C
	s_mov_b64 s[60:61], 0                                      // 00000000AA6C: BEBC0180
	v_readlane_b32 s82, v3, 0                                  // 00000000AA70: D2890052 00010103
	s_and_b32 s82, s82, 0xffffff                               // 00000000AA78: 8652FF52 00FFFFFF
	s_cmp_lt_u32 s82, s66                                      // 00000000AA80: BF0A4252
	s_cselect_b32 s20, s36, s60                                // 00000000AA84: 85143C24
	v_readlane_b32 s82, v3, 1                                  // 00000000AA88: D2890052 00010303
	s_and_b32 s82, s82, 0xffffff                               // 00000000AA90: 8652FF52 00FFFFFF
	s_cmp_lt_u32 s82, s66                                      // 00000000AA98: BF0A4252
	s_cselect_b32 s21, s36, s60                                // 00000000AA9C: 85153C24
	s_mov_b64 exec, s[20:21]                                   // 00000000AAA0: BEFE0114
	global_atomic_add_f32 v6, v112, s[8:9]                     // 00000000AAA4: DD348000 00087006
	s_mov_b64 exec, s[36:37]                                   // 00000000AAAC: BEFE0124
	v_mov_b32_e32 v6, v61                                      // 00000000AAB0: 7E0C033D
	s_mov_b64 s[60:61], 0                                      // 00000000AAB4: BEBC0180
	v_readlane_b32 s82, v3, 2                                  // 00000000AAB8: D2890052 00010503
	s_and_b32 s82, s82, 0xffffff                               // 00000000AAC0: 8652FF52 00FFFFFF
	s_cmp_lt_u32 s82, s66                                      // 00000000AAC8: BF0A4252
	s_cselect_b32 s20, s36, s60                                // 00000000AACC: 85143C24
	v_readlane_b32 s82, v3, 3                                  // 00000000AAD0: D2890052 00010703
	s_and_b32 s82, s82, 0xffffff                               // 00000000AAD8: 8652FF52 00FFFFFF
	s_cmp_lt_u32 s82, s66                                      // 00000000AAE0: BF0A4252
	s_cselect_b32 s21, s36, s60                                // 00000000AAE4: 85153C24
	s_mov_b64 exec, s[20:21]                                   // 00000000AAE8: BEFE0114
	global_atomic_add_f32 v6, v113, s[8:9]                     // 00000000AAEC: DD348000 00087106
	s_mov_b64 exec, s[36:37]                                   // 00000000AAF4: BEFE0124
	v_mov_b32_e32 v6, v62                                      // 00000000AAF8: 7E0C033E
	s_mov_b64 s[60:61], 0                                      // 00000000AAFC: BEBC0180
	v_readlane_b32 s82, v3, 4                                  // 00000000AB00: D2890052 00010903
	s_and_b32 s82, s82, 0xffffff                               // 00000000AB08: 8652FF52 00FFFFFF
	s_cmp_lt_u32 s82, s66                                      // 00000000AB10: BF0A4252
	s_cselect_b32 s20, s36, s60                                // 00000000AB14: 85143C24
	v_readlane_b32 s82, v3, 5                                  // 00000000AB18: D2890052 00010B03
	s_and_b32 s82, s82, 0xffffff                               // 00000000AB20: 8652FF52 00FFFFFF
	s_cmp_lt_u32 s82, s66                                      // 00000000AB28: BF0A4252
	s_cselect_b32 s21, s36, s60                                // 00000000AB2C: 85153C24
	s_mov_b64 exec, s[20:21]                                   // 00000000AB30: BEFE0114
	global_atomic_add_f32 v6, v116, s[8:9]                     // 00000000AB34: DD348000 00087406
	s_mov_b64 exec, s[36:37]                                   // 00000000AB3C: BEFE0124
	v_mov_b32_e32 v6, v63                                      // 00000000AB40: 7E0C033F
	s_mov_b64 s[60:61], 0                                      // 00000000AB44: BEBC0180
	v_readlane_b32 s82, v3, 6                                  // 00000000AB48: D2890052 00010D03
	s_and_b32 s82, s82, 0xffffff                               // 00000000AB50: 8652FF52 00FFFFFF
	s_cmp_lt_u32 s82, s66                                      // 00000000AB58: BF0A4252
	s_cselect_b32 s20, s36, s60                                // 00000000AB5C: 85143C24
	v_readlane_b32 s82, v3, 7                                  // 00000000AB60: D2890052 00010F03
	s_and_b32 s82, s82, 0xffffff                               // 00000000AB68: 8652FF52 00FFFFFF
	s_cmp_lt_u32 s82, s66                                      // 00000000AB70: BF0A4252
	s_cselect_b32 s21, s36, s60                                // 00000000AB74: 85153C24
	s_mov_b64 exec, s[20:21]                                   // 00000000AB78: BEFE0114
	global_atomic_add_f32 v6, v117, s[8:9]                     // 00000000AB7C: DD348000 00087506
	s_mov_b64 exec, s[36:37]                                   // 00000000AB84: BEFE0124
	v_mov_b32_e32 v6, v64                                      // 00000000AB88: 7E0C0340
	s_mov_b64 s[60:61], 0                                      // 00000000AB8C: BEBC0180
	v_readlane_b32 s82, v3, 8                                  // 00000000AB90: D2890052 00011103
	s_and_b32 s82, s82, 0xffffff                               // 00000000AB98: 8652FF52 00FFFFFF
	s_cmp_lt_u32 s82, s66                                      // 00000000ABA0: BF0A4252
	s_cselect_b32 s20, s36, s60                                // 00000000ABA4: 85143C24
	v_readlane_b32 s82, v3, 9                                  // 00000000ABA8: D2890052 00011303
	s_and_b32 s82, s82, 0xffffff                               // 00000000ABB0: 8652FF52 00FFFFFF
	s_cmp_lt_u32 s82, s66                                      // 00000000ABB8: BF0A4252
	s_cselect_b32 s21, s36, s60                                // 00000000ABBC: 85153C24
	s_mov_b64 exec, s[20:21]                                   // 00000000ABC0: BEFE0114
	global_atomic_add_f32 v6, v120, s[8:9]                     // 00000000ABC4: DD348000 00087806
	s_mov_b64 exec, s[36:37]                                   // 00000000ABCC: BEFE0124
	v_mov_b32_e32 v6, v65                                      // 00000000ABD0: 7E0C0341
	s_mov_b64 s[60:61], 0                                      // 00000000ABD4: BEBC0180
	v_readlane_b32 s82, v3, 10                                 // 00000000ABD8: D2890052 00011503
	s_and_b32 s82, s82, 0xffffff                               // 00000000ABE0: 8652FF52 00FFFFFF
	s_cmp_lt_u32 s82, s66                                      // 00000000ABE8: BF0A4252
	s_cselect_b32 s20, s36, s60                                // 00000000ABEC: 85143C24
	v_readlane_b32 s82, v3, 11                                 // 00000000ABF0: D2890052 00011703
	s_and_b32 s82, s82, 0xffffff                               // 00000000ABF8: 8652FF52 00FFFFFF
	s_cmp_lt_u32 s82, s66                                      // 00000000AC00: BF0A4252
	s_cselect_b32 s21, s36, s60                                // 00000000AC04: 85153C24
	s_mov_b64 exec, s[20:21]                                   // 00000000AC08: BEFE0114
	global_atomic_add_f32 v6, v121, s[8:9]                     // 00000000AC0C: DD348000 00087906
	s_mov_b64 exec, s[36:37]                                   // 00000000AC14: BEFE0124
	v_mov_b32_e32 v6, v66                                      // 00000000AC18: 7E0C0342
	s_mov_b64 s[60:61], 0                                      // 00000000AC1C: BEBC0180
	v_readlane_b32 s82, v3, 12                                 // 00000000AC20: D2890052 00011903
	s_and_b32 s82, s82, 0xffffff                               // 00000000AC28: 8652FF52 00FFFFFF
	s_cmp_lt_u32 s82, s66                                      // 00000000AC30: BF0A4252
	s_cselect_b32 s20, s36, s60                                // 00000000AC34: 85143C24
	v_readlane_b32 s82, v3, 13                                 // 00000000AC38: D2890052 00011B03
	s_and_b32 s82, s82, 0xffffff                               // 00000000AC40: 8652FF52 00FFFFFF
	s_cmp_lt_u32 s82, s66                                      // 00000000AC48: BF0A4252
	s_cselect_b32 s21, s36, s60                                // 00000000AC4C: 85153C24
	s_mov_b64 exec, s[20:21]                                   // 00000000AC50: BEFE0114
	global_atomic_add_f32 v6, v124, s[8:9]                     // 00000000AC54: DD348000 00087C06
	s_mov_b64 exec, s[36:37]                                   // 00000000AC5C: BEFE0124
	v_mov_b32_e32 v6, v67                                      // 00000000AC60: 7E0C0343
	s_mov_b64 s[60:61], 0                                      // 00000000AC64: BEBC0180
	v_readlane_b32 s82, v3, 14                                 // 00000000AC68: D2890052 00011D03
	s_and_b32 s82, s82, 0xffffff                               // 00000000AC70: 8652FF52 00FFFFFF
	s_cmp_lt_u32 s82, s66                                      // 00000000AC78: BF0A4252
	s_cselect_b32 s20, s36, s60                                // 00000000AC7C: 85143C24
	v_readlane_b32 s82, v3, 15                                 // 00000000AC80: D2890052 00011F03
	s_and_b32 s82, s82, 0xffffff                               // 00000000AC88: 8652FF52 00FFFFFF
	s_cmp_lt_u32 s82, s66                                      // 00000000AC90: BF0A4252
	s_cselect_b32 s21, s36, s60                                // 00000000AC94: 85153C24
	s_mov_b64 exec, s[20:21]                                   // 00000000AC98: BEFE0114
	global_atomic_add_f32 v6, v125, s[8:9]                     // 00000000AC9C: DD348000 00087D06
	s_mov_b64 exec, s[36:37]                                   // 00000000ACA4: BEFE0124
	v_mov_b32_e32 v6, v68                                      // 00000000ACA8: 7E0C0344
	s_mov_b64 s[60:61], 0                                      // 00000000ACAC: BEBC0180
	v_readlane_b32 s82, v3, 16                                 // 00000000ACB0: D2890052 00012103
	s_and_b32 s82, s82, 0xffffff                               // 00000000ACB8: 8652FF52 00FFFFFF
	s_cmp_lt_u32 s82, s66                                      // 00000000ACC0: BF0A4252
	s_cselect_b32 s20, s36, s60                                // 00000000ACC4: 85143C24
	v_readlane_b32 s82, v3, 17                                 // 00000000ACC8: D2890052 00012303
	s_and_b32 s82, s82, 0xffffff                               // 00000000ACD0: 8652FF52 00FFFFFF
	s_cmp_lt_u32 s82, s66                                      // 00000000ACD8: BF0A4252
	s_cselect_b32 s21, s36, s60                                // 00000000ACDC: 85153C24
	s_mov_b64 exec, s[20:21]                                   // 00000000ACE0: BEFE0114
	global_atomic_add_f32 v6, v128, s[8:9]                     // 00000000ACE4: DD348000 00088006
	s_mov_b64 exec, s[36:37]                                   // 00000000ACEC: BEFE0124
	v_mov_b32_e32 v6, v69                                      // 00000000ACF0: 7E0C0345
	s_mov_b64 s[60:61], 0                                      // 00000000ACF4: BEBC0180
	v_readlane_b32 s82, v3, 18                                 // 00000000ACF8: D2890052 00012503
	s_and_b32 s82, s82, 0xffffff                               // 00000000AD00: 8652FF52 00FFFFFF
	s_cmp_lt_u32 s82, s66                                      // 00000000AD08: BF0A4252
	s_cselect_b32 s20, s36, s60                                // 00000000AD0C: 85143C24
	v_readlane_b32 s82, v3, 19                                 // 00000000AD10: D2890052 00012703
	s_and_b32 s82, s82, 0xffffff                               // 00000000AD18: 8652FF52 00FFFFFF
	s_cmp_lt_u32 s82, s66                                      // 00000000AD20: BF0A4252
	s_cselect_b32 s21, s36, s60                                // 00000000AD24: 85153C24
	s_mov_b64 exec, s[20:21]                                   // 00000000AD28: BEFE0114
	global_atomic_add_f32 v6, v129, s[8:9]                     // 00000000AD2C: DD348000 00088106
	s_mov_b64 exec, s[36:37]                                   // 00000000AD34: BEFE0124
	v_mov_b32_e32 v6, v70                                      // 00000000AD38: 7E0C0346
	s_mov_b64 s[60:61], 0                                      // 00000000AD3C: BEBC0180
	v_readlane_b32 s82, v3, 20                                 // 00000000AD40: D2890052 00012903
	s_and_b32 s82, s82, 0xffffff                               // 00000000AD48: 8652FF52 00FFFFFF
	s_cmp_lt_u32 s82, s66                                      // 00000000AD50: BF0A4252
	s_cselect_b32 s20, s36, s60                                // 00000000AD54: 85143C24
	v_readlane_b32 s82, v3, 21                                 // 00000000AD58: D2890052 00012B03
	s_and_b32 s82, s82, 0xffffff                               // 00000000AD60: 8652FF52 00FFFFFF
	s_cmp_lt_u32 s82, s66                                      // 00000000AD68: BF0A4252
	s_cselect_b32 s21, s36, s60                                // 00000000AD6C: 85153C24
	s_mov_b64 exec, s[20:21]                                   // 00000000AD70: BEFE0114
	global_atomic_add_f32 v6, v132, s[8:9]                     // 00000000AD74: DD348000 00088406
	s_mov_b64 exec, s[36:37]                                   // 00000000AD7C: BEFE0124
	v_mov_b32_e32 v6, v71                                      // 00000000AD80: 7E0C0347
	s_mov_b64 s[60:61], 0                                      // 00000000AD84: BEBC0180
	v_readlane_b32 s82, v3, 22                                 // 00000000AD88: D2890052 00012D03
	s_and_b32 s82, s82, 0xffffff                               // 00000000AD90: 8652FF52 00FFFFFF
	s_cmp_lt_u32 s82, s66                                      // 00000000AD98: BF0A4252
	s_cselect_b32 s20, s36, s60                                // 00000000AD9C: 85143C24
	v_readlane_b32 s82, v3, 23                                 // 00000000ADA0: D2890052 00012F03
	s_and_b32 s82, s82, 0xffffff                               // 00000000ADA8: 8652FF52 00FFFFFF
	s_cmp_lt_u32 s82, s66                                      // 00000000ADB0: BF0A4252
	s_cselect_b32 s21, s36, s60                                // 00000000ADB4: 85153C24
	s_mov_b64 exec, s[20:21]                                   // 00000000ADB8: BEFE0114
	global_atomic_add_f32 v6, v133, s[8:9]                     // 00000000ADBC: DD348000 00088506
	s_mov_b64 exec, s[36:37]                                   // 00000000ADC4: BEFE0124
	v_mov_b32_e32 v6, v72                                      // 00000000ADC8: 7E0C0348
	s_mov_b64 s[60:61], 0                                      // 00000000ADCC: BEBC0180
	v_readlane_b32 s82, v3, 24                                 // 00000000ADD0: D2890052 00013103
	s_and_b32 s82, s82, 0xffffff                               // 00000000ADD8: 8652FF52 00FFFFFF
	s_cmp_lt_u32 s82, s66                                      // 00000000ADE0: BF0A4252
	s_cselect_b32 s20, s36, s60                                // 00000000ADE4: 85143C24
	v_readlane_b32 s82, v3, 25                                 // 00000000ADE8: D2890052 00013303
	s_and_b32 s82, s82, 0xffffff                               // 00000000ADF0: 8652FF52 00FFFFFF
	s_cmp_lt_u32 s82, s66                                      // 00000000ADF8: BF0A4252
	s_cselect_b32 s21, s36, s60                                // 00000000ADFC: 85153C24
	s_mov_b64 exec, s[20:21]                                   // 00000000AE00: BEFE0114
	global_atomic_add_f32 v6, v136, s[8:9]                     // 00000000AE04: DD348000 00088806
	s_mov_b64 exec, s[36:37]                                   // 00000000AE0C: BEFE0124
	v_mov_b32_e32 v6, v73                                      // 00000000AE10: 7E0C0349
	s_mov_b64 s[60:61], 0                                      // 00000000AE14: BEBC0180
	v_readlane_b32 s82, v3, 26                                 // 00000000AE18: D2890052 00013503
	s_and_b32 s82, s82, 0xffffff                               // 00000000AE20: 8652FF52 00FFFFFF
	s_cmp_lt_u32 s82, s66                                      // 00000000AE28: BF0A4252
	s_cselect_b32 s20, s36, s60                                // 00000000AE2C: 85143C24
	v_readlane_b32 s82, v3, 27                                 // 00000000AE30: D2890052 00013703
	s_and_b32 s82, s82, 0xffffff                               // 00000000AE38: 8652FF52 00FFFFFF
	s_cmp_lt_u32 s82, s66                                      // 00000000AE40: BF0A4252
	s_cselect_b32 s21, s36, s60                                // 00000000AE44: 85153C24
	s_mov_b64 exec, s[20:21]                                   // 00000000AE48: BEFE0114
	global_atomic_add_f32 v6, v137, s[8:9]                     // 00000000AE4C: DD348000 00088906
	s_mov_b64 exec, s[36:37]                                   // 00000000AE54: BEFE0124
	v_mov_b32_e32 v6, v74                                      // 00000000AE58: 7E0C034A
	s_mov_b64 s[60:61], 0                                      // 00000000AE5C: BEBC0180
	v_readlane_b32 s82, v3, 28                                 // 00000000AE60: D2890052 00013903
	s_and_b32 s82, s82, 0xffffff                               // 00000000AE68: 8652FF52 00FFFFFF
	s_cmp_lt_u32 s82, s66                                      // 00000000AE70: BF0A4252
	s_cselect_b32 s20, s36, s60                                // 00000000AE74: 85143C24
	v_readlane_b32 s82, v3, 29                                 // 00000000AE78: D2890052 00013B03
	s_and_b32 s82, s82, 0xffffff                               // 00000000AE80: 8652FF52 00FFFFFF
	s_cmp_lt_u32 s82, s66                                      // 00000000AE88: BF0A4252
	s_cselect_b32 s21, s36, s60                                // 00000000AE8C: 85153C24
	s_mov_b64 exec, s[20:21]                                   // 00000000AE90: BEFE0114
	global_atomic_add_f32 v6, v140, s[8:9]                     // 00000000AE94: DD348000 00088C06
	s_mov_b64 exec, s[36:37]                                   // 00000000AE9C: BEFE0124
	v_mov_b32_e32 v6, v75                                      // 00000000AEA0: 7E0C034B
	s_mov_b64 s[60:61], 0                                      // 00000000AEA4: BEBC0180
	v_readlane_b32 s82, v3, 30                                 // 00000000AEA8: D2890052 00013D03
	s_and_b32 s82, s82, 0xffffff                               // 00000000AEB0: 8652FF52 00FFFFFF
	s_cmp_lt_u32 s82, s66                                      // 00000000AEB8: BF0A4252
	s_cselect_b32 s20, s36, s60                                // 00000000AEBC: 85143C24
	v_readlane_b32 s82, v3, 31                                 // 00000000AEC0: D2890052 00013F03
	s_and_b32 s82, s82, 0xffffff                               // 00000000AEC8: 8652FF52 00FFFFFF
	s_cmp_lt_u32 s82, s66                                      // 00000000AED0: BF0A4252
	s_cselect_b32 s21, s36, s60                                // 00000000AED4: 85153C24
	s_mov_b64 exec, s[20:21]                                   // 00000000AED8: BEFE0114
	global_atomic_add_f32 v6, v141, s[8:9]                     // 00000000AEDC: DD348000 00088D06
	s_mov_b64 exec, s[36:37]                                   // 00000000AEE4: BEFE0124
	ds_write_b64 v20, v[114:115]                               // 00000000AEE8: D89A0000 00007214
	ds_write_b64 v20, v[118:119] offset:2176                   // 00000000AEF0: D89A0880 00007614
	ds_write_b64 v20, v[122:123] offset:4352                   // 00000000AEF8: D89A1100 00007A14
	ds_write_b64 v20, v[126:127] offset:6528                   // 00000000AF00: D89A1980 00007E14
	ds_write_b64 v20, v[130:131] offset:8704                   // 00000000AF08: D89A2200 00008214
	ds_write_b64 v20, v[134:135] offset:10880                  // 00000000AF10: D89A2A80 00008614
	ds_write_b64 v20, v[138:139] offset:13056                  // 00000000AF18: D89A3300 00008A14
	ds_write_b64 v20, v[142:143] offset:15232                  // 00000000AF20: D89A3B80 00008E14
	s_waitcnt lgkmcnt(0)                                       // 00000000AF28: BF8CC07F
	s_barrier                                                  // 00000000AF2C: BF8A0000
	ds_read_b32 v114, v21                                      // 00000000AF30: D86C0000 72000015
	ds_read_b32 v115, v21 offset:64                            // 00000000AF38: D86C0040 73000015
	ds_read_b32 v118, v21 offset:2176                          // 00000000AF40: D86C0880 76000015
	ds_read_b32 v119, v21 offset:2240                          // 00000000AF48: D86C08C0 77000015
	ds_read_b32 v122, v21 offset:4352                          // 00000000AF50: D86C1100 7A000015
	ds_read_b32 v123, v21 offset:4416                          // 00000000AF58: D86C1140 7B000015
	ds_read_b32 v126, v21 offset:6528                          // 00000000AF60: D86C1980 7E000015
	ds_read_b32 v127, v21 offset:6592                          // 00000000AF68: D86C19C0 7F000015
	ds_read_b32 v130, v21 offset:8704                          // 00000000AF70: D86C2200 82000015
	ds_read_b32 v131, v21 offset:8768                          // 00000000AF78: D86C2240 83000015
	ds_read_b32 v134, v21 offset:10880                         // 00000000AF80: D86C2A80 86000015
	ds_read_b32 v135, v21 offset:10944                         // 00000000AF88: D86C2AC0 87000015
	ds_read_b32 v138, v21 offset:13056                         // 00000000AF90: D86C3300 8A000015
	ds_read_b32 v139, v21 offset:13120                         // 00000000AF98: D86C3340 8B000015
	ds_read_b32 v142, v21 offset:15232                         // 00000000AFA0: D86C3B80 8E000015
	ds_read_b32 v143, v21 offset:15296                         // 00000000AFA8: D86C3BC0 8F000015
	s_waitcnt lgkmcnt(0)                                       // 00000000AFB0: BF8CC07F
	v_mov_b32_e32 v7, 0                                        // 00000000AFB4: 7E0E0280
	s_mov_b64 exec, s[36:37]                                   // 00000000AFB8: BEFE0124
	v_mov_b32_e32 v6, v60                                      // 00000000AFBC: 7E0C033C
	s_mov_b64 s[60:61], 0                                      // 00000000AFC0: BEBC0180
	v_readlane_b32 s82, v3, 0                                  // 00000000AFC4: D2890052 00010103
	s_and_b32 s82, s82, 0xffffff                               // 00000000AFCC: 8652FF52 00FFFFFF
	s_cmp_lt_u32 s82, s66                                      // 00000000AFD4: BF0A4252
	s_cselect_b32 s20, s36, s60                                // 00000000AFD8: 85143C24
	v_readlane_b32 s82, v3, 1                                  // 00000000AFDC: D2890052 00010303
	s_and_b32 s82, s82, 0xffffff                               // 00000000AFE4: 8652FF52 00FFFFFF
	s_cmp_lt_u32 s82, s66                                      // 00000000AFEC: BF0A4252
	s_cselect_b32 s21, s36, s60                                // 00000000AFF0: 85153C24
	s_mov_b64 exec, s[20:21]                                   // 00000000AFF4: BEFE0114
	global_atomic_add_f32 v6, v114, s[8:9] offset:8            // 00000000AFF8: DD348008 00087206
	s_mov_b64 exec, s[36:37]                                   // 00000000B000: BEFE0124
	v_mov_b32_e32 v6, v61                                      // 00000000B004: 7E0C033D
	s_mov_b64 s[60:61], 0                                      // 00000000B008: BEBC0180
	v_readlane_b32 s82, v3, 2                                  // 00000000B00C: D2890052 00010503
	s_and_b32 s82, s82, 0xffffff                               // 00000000B014: 8652FF52 00FFFFFF
	s_cmp_lt_u32 s82, s66                                      // 00000000B01C: BF0A4252
	s_cselect_b32 s20, s36, s60                                // 00000000B020: 85143C24
	v_readlane_b32 s82, v3, 3                                  // 00000000B024: D2890052 00010703
	s_and_b32 s82, s82, 0xffffff                               // 00000000B02C: 8652FF52 00FFFFFF
	s_cmp_lt_u32 s82, s66                                      // 00000000B034: BF0A4252
	s_cselect_b32 s21, s36, s60                                // 00000000B038: 85153C24
	s_mov_b64 exec, s[20:21]                                   // 00000000B03C: BEFE0114
	global_atomic_add_f32 v6, v115, s[8:9] offset:8            // 00000000B040: DD348008 00087306
	s_mov_b64 exec, s[36:37]                                   // 00000000B048: BEFE0124
	v_mov_b32_e32 v6, v62                                      // 00000000B04C: 7E0C033E
	s_mov_b64 s[60:61], 0                                      // 00000000B050: BEBC0180
	v_readlane_b32 s82, v3, 4                                  // 00000000B054: D2890052 00010903
	s_and_b32 s82, s82, 0xffffff                               // 00000000B05C: 8652FF52 00FFFFFF
	s_cmp_lt_u32 s82, s66                                      // 00000000B064: BF0A4252
	s_cselect_b32 s20, s36, s60                                // 00000000B068: 85143C24
	v_readlane_b32 s82, v3, 5                                  // 00000000B06C: D2890052 00010B03
	s_and_b32 s82, s82, 0xffffff                               // 00000000B074: 8652FF52 00FFFFFF
	s_cmp_lt_u32 s82, s66                                      // 00000000B07C: BF0A4252
	s_cselect_b32 s21, s36, s60                                // 00000000B080: 85153C24
	s_mov_b64 exec, s[20:21]                                   // 00000000B084: BEFE0114
	global_atomic_add_f32 v6, v118, s[8:9] offset:8            // 00000000B088: DD348008 00087606
	s_mov_b64 exec, s[36:37]                                   // 00000000B090: BEFE0124
	v_mov_b32_e32 v6, v63                                      // 00000000B094: 7E0C033F
	s_mov_b64 s[60:61], 0                                      // 00000000B098: BEBC0180
	v_readlane_b32 s82, v3, 6                                  // 00000000B09C: D2890052 00010D03
	s_and_b32 s82, s82, 0xffffff                               // 00000000B0A4: 8652FF52 00FFFFFF
	s_cmp_lt_u32 s82, s66                                      // 00000000B0AC: BF0A4252
	s_cselect_b32 s20, s36, s60                                // 00000000B0B0: 85143C24
	v_readlane_b32 s82, v3, 7                                  // 00000000B0B4: D2890052 00010F03
	s_and_b32 s82, s82, 0xffffff                               // 00000000B0BC: 8652FF52 00FFFFFF
	s_cmp_lt_u32 s82, s66                                      // 00000000B0C4: BF0A4252
	s_cselect_b32 s21, s36, s60                                // 00000000B0C8: 85153C24
	s_mov_b64 exec, s[20:21]                                   // 00000000B0CC: BEFE0114
	global_atomic_add_f32 v6, v119, s[8:9] offset:8            // 00000000B0D0: DD348008 00087706
	s_mov_b64 exec, s[36:37]                                   // 00000000B0D8: BEFE0124
	v_mov_b32_e32 v6, v64                                      // 00000000B0DC: 7E0C0340
	s_mov_b64 s[60:61], 0                                      // 00000000B0E0: BEBC0180
	v_readlane_b32 s82, v3, 8                                  // 00000000B0E4: D2890052 00011103
	s_and_b32 s82, s82, 0xffffff                               // 00000000B0EC: 8652FF52 00FFFFFF
	s_cmp_lt_u32 s82, s66                                      // 00000000B0F4: BF0A4252
	s_cselect_b32 s20, s36, s60                                // 00000000B0F8: 85143C24
	v_readlane_b32 s82, v3, 9                                  // 00000000B0FC: D2890052 00011303
	s_and_b32 s82, s82, 0xffffff                               // 00000000B104: 8652FF52 00FFFFFF
	s_cmp_lt_u32 s82, s66                                      // 00000000B10C: BF0A4252
	s_cselect_b32 s21, s36, s60                                // 00000000B110: 85153C24
	s_mov_b64 exec, s[20:21]                                   // 00000000B114: BEFE0114
	global_atomic_add_f32 v6, v122, s[8:9] offset:8            // 00000000B118: DD348008 00087A06
	s_mov_b64 exec, s[36:37]                                   // 00000000B120: BEFE0124
	v_mov_b32_e32 v6, v65                                      // 00000000B124: 7E0C0341
	s_mov_b64 s[60:61], 0                                      // 00000000B128: BEBC0180
	v_readlane_b32 s82, v3, 10                                 // 00000000B12C: D2890052 00011503
	s_and_b32 s82, s82, 0xffffff                               // 00000000B134: 8652FF52 00FFFFFF
	s_cmp_lt_u32 s82, s66                                      // 00000000B13C: BF0A4252
	s_cselect_b32 s20, s36, s60                                // 00000000B140: 85143C24
	v_readlane_b32 s82, v3, 11                                 // 00000000B144: D2890052 00011703
	s_and_b32 s82, s82, 0xffffff                               // 00000000B14C: 8652FF52 00FFFFFF
	s_cmp_lt_u32 s82, s66                                      // 00000000B154: BF0A4252
	s_cselect_b32 s21, s36, s60                                // 00000000B158: 85153C24
	s_mov_b64 exec, s[20:21]                                   // 00000000B15C: BEFE0114
	global_atomic_add_f32 v6, v123, s[8:9] offset:8            // 00000000B160: DD348008 00087B06
	s_mov_b64 exec, s[36:37]                                   // 00000000B168: BEFE0124
	v_mov_b32_e32 v6, v66                                      // 00000000B16C: 7E0C0342
	s_mov_b64 s[60:61], 0                                      // 00000000B170: BEBC0180
	v_readlane_b32 s82, v3, 12                                 // 00000000B174: D2890052 00011903
	s_and_b32 s82, s82, 0xffffff                               // 00000000B17C: 8652FF52 00FFFFFF
	s_cmp_lt_u32 s82, s66                                      // 00000000B184: BF0A4252
	s_cselect_b32 s20, s36, s60                                // 00000000B188: 85143C24
	v_readlane_b32 s82, v3, 13                                 // 00000000B18C: D2890052 00011B03
	s_and_b32 s82, s82, 0xffffff                               // 00000000B194: 8652FF52 00FFFFFF
	s_cmp_lt_u32 s82, s66                                      // 00000000B19C: BF0A4252
	s_cselect_b32 s21, s36, s60                                // 00000000B1A0: 85153C24
	s_mov_b64 exec, s[20:21]                                   // 00000000B1A4: BEFE0114
	global_atomic_add_f32 v6, v126, s[8:9] offset:8            // 00000000B1A8: DD348008 00087E06
	s_mov_b64 exec, s[36:37]                                   // 00000000B1B0: BEFE0124
	v_mov_b32_e32 v6, v67                                      // 00000000B1B4: 7E0C0343
	s_mov_b64 s[60:61], 0                                      // 00000000B1B8: BEBC0180
	v_readlane_b32 s82, v3, 14                                 // 00000000B1BC: D2890052 00011D03
	s_and_b32 s82, s82, 0xffffff                               // 00000000B1C4: 8652FF52 00FFFFFF
	s_cmp_lt_u32 s82, s66                                      // 00000000B1CC: BF0A4252
	s_cselect_b32 s20, s36, s60                                // 00000000B1D0: 85143C24
	v_readlane_b32 s82, v3, 15                                 // 00000000B1D4: D2890052 00011F03
	s_and_b32 s82, s82, 0xffffff                               // 00000000B1DC: 8652FF52 00FFFFFF
	s_cmp_lt_u32 s82, s66                                      // 00000000B1E4: BF0A4252
	s_cselect_b32 s21, s36, s60                                // 00000000B1E8: 85153C24
	s_mov_b64 exec, s[20:21]                                   // 00000000B1EC: BEFE0114
	global_atomic_add_f32 v6, v127, s[8:9] offset:8            // 00000000B1F0: DD348008 00087F06
	s_mov_b64 exec, s[36:37]                                   // 00000000B1F8: BEFE0124
	v_mov_b32_e32 v6, v68                                      // 00000000B1FC: 7E0C0344
	s_mov_b64 s[60:61], 0                                      // 00000000B200: BEBC0180
	v_readlane_b32 s82, v3, 16                                 // 00000000B204: D2890052 00012103
	s_and_b32 s82, s82, 0xffffff                               // 00000000B20C: 8652FF52 00FFFFFF
	s_cmp_lt_u32 s82, s66                                      // 00000000B214: BF0A4252
	s_cselect_b32 s20, s36, s60                                // 00000000B218: 85143C24
	v_readlane_b32 s82, v3, 17                                 // 00000000B21C: D2890052 00012303
	s_and_b32 s82, s82, 0xffffff                               // 00000000B224: 8652FF52 00FFFFFF
	s_cmp_lt_u32 s82, s66                                      // 00000000B22C: BF0A4252
	s_cselect_b32 s21, s36, s60                                // 00000000B230: 85153C24
	s_mov_b64 exec, s[20:21]                                   // 00000000B234: BEFE0114
	global_atomic_add_f32 v6, v130, s[8:9] offset:8            // 00000000B238: DD348008 00088206
	s_mov_b64 exec, s[36:37]                                   // 00000000B240: BEFE0124
	v_mov_b32_e32 v6, v69                                      // 00000000B244: 7E0C0345
	s_mov_b64 s[60:61], 0                                      // 00000000B248: BEBC0180
	v_readlane_b32 s82, v3, 18                                 // 00000000B24C: D2890052 00012503
	s_and_b32 s82, s82, 0xffffff                               // 00000000B254: 8652FF52 00FFFFFF
	s_cmp_lt_u32 s82, s66                                      // 00000000B25C: BF0A4252
	s_cselect_b32 s20, s36, s60                                // 00000000B260: 85143C24
	v_readlane_b32 s82, v3, 19                                 // 00000000B264: D2890052 00012703
	s_and_b32 s82, s82, 0xffffff                               // 00000000B26C: 8652FF52 00FFFFFF
	s_cmp_lt_u32 s82, s66                                      // 00000000B274: BF0A4252
	s_cselect_b32 s21, s36, s60                                // 00000000B278: 85153C24
	s_mov_b64 exec, s[20:21]                                   // 00000000B27C: BEFE0114
	global_atomic_add_f32 v6, v131, s[8:9] offset:8            // 00000000B280: DD348008 00088306
	s_mov_b64 exec, s[36:37]                                   // 00000000B288: BEFE0124
	v_mov_b32_e32 v6, v70                                      // 00000000B28C: 7E0C0346
	s_mov_b64 s[60:61], 0                                      // 00000000B290: BEBC0180
	v_readlane_b32 s82, v3, 20                                 // 00000000B294: D2890052 00012903
	s_and_b32 s82, s82, 0xffffff                               // 00000000B29C: 8652FF52 00FFFFFF
	s_cmp_lt_u32 s82, s66                                      // 00000000B2A4: BF0A4252
	s_cselect_b32 s20, s36, s60                                // 00000000B2A8: 85143C24
	v_readlane_b32 s82, v3, 21                                 // 00000000B2AC: D2890052 00012B03
	s_and_b32 s82, s82, 0xffffff                               // 00000000B2B4: 8652FF52 00FFFFFF
	s_cmp_lt_u32 s82, s66                                      // 00000000B2BC: BF0A4252
	s_cselect_b32 s21, s36, s60                                // 00000000B2C0: 85153C24
	s_mov_b64 exec, s[20:21]                                   // 00000000B2C4: BEFE0114
	global_atomic_add_f32 v6, v134, s[8:9] offset:8            // 00000000B2C8: DD348008 00088606
	s_mov_b64 exec, s[36:37]                                   // 00000000B2D0: BEFE0124
	v_mov_b32_e32 v6, v71                                      // 00000000B2D4: 7E0C0347
	s_mov_b64 s[60:61], 0                                      // 00000000B2D8: BEBC0180
	v_readlane_b32 s82, v3, 22                                 // 00000000B2DC: D2890052 00012D03
	s_and_b32 s82, s82, 0xffffff                               // 00000000B2E4: 8652FF52 00FFFFFF
	s_cmp_lt_u32 s82, s66                                      // 00000000B2EC: BF0A4252
	s_cselect_b32 s20, s36, s60                                // 00000000B2F0: 85143C24
	v_readlane_b32 s82, v3, 23                                 // 00000000B2F4: D2890052 00012F03
	s_and_b32 s82, s82, 0xffffff                               // 00000000B2FC: 8652FF52 00FFFFFF
	s_cmp_lt_u32 s82, s66                                      // 00000000B304: BF0A4252
	s_cselect_b32 s21, s36, s60                                // 00000000B308: 85153C24
	s_mov_b64 exec, s[20:21]                                   // 00000000B30C: BEFE0114
	global_atomic_add_f32 v6, v135, s[8:9] offset:8            // 00000000B310: DD348008 00088706
	s_mov_b64 exec, s[36:37]                                   // 00000000B318: BEFE0124
	v_mov_b32_e32 v6, v72                                      // 00000000B31C: 7E0C0348
	s_mov_b64 s[60:61], 0                                      // 00000000B320: BEBC0180
	v_readlane_b32 s82, v3, 24                                 // 00000000B324: D2890052 00013103
	s_and_b32 s82, s82, 0xffffff                               // 00000000B32C: 8652FF52 00FFFFFF
	s_cmp_lt_u32 s82, s66                                      // 00000000B334: BF0A4252
	s_cselect_b32 s20, s36, s60                                // 00000000B338: 85143C24
	v_readlane_b32 s82, v3, 25                                 // 00000000B33C: D2890052 00013303
	s_and_b32 s82, s82, 0xffffff                               // 00000000B344: 8652FF52 00FFFFFF
	s_cmp_lt_u32 s82, s66                                      // 00000000B34C: BF0A4252
	s_cselect_b32 s21, s36, s60                                // 00000000B350: 85153C24
	s_mov_b64 exec, s[20:21]                                   // 00000000B354: BEFE0114
	global_atomic_add_f32 v6, v138, s[8:9] offset:8            // 00000000B358: DD348008 00088A06
	s_mov_b64 exec, s[36:37]                                   // 00000000B360: BEFE0124
	v_mov_b32_e32 v6, v73                                      // 00000000B364: 7E0C0349
	s_mov_b64 s[60:61], 0                                      // 00000000B368: BEBC0180
	v_readlane_b32 s82, v3, 26                                 // 00000000B36C: D2890052 00013503
	s_and_b32 s82, s82, 0xffffff                               // 00000000B374: 8652FF52 00FFFFFF
	s_cmp_lt_u32 s82, s66                                      // 00000000B37C: BF0A4252
	s_cselect_b32 s20, s36, s60                                // 00000000B380: 85143C24
	v_readlane_b32 s82, v3, 27                                 // 00000000B384: D2890052 00013703
	s_and_b32 s82, s82, 0xffffff                               // 00000000B38C: 8652FF52 00FFFFFF
	s_cmp_lt_u32 s82, s66                                      // 00000000B394: BF0A4252
	s_cselect_b32 s21, s36, s60                                // 00000000B398: 85153C24
	s_mov_b64 exec, s[20:21]                                   // 00000000B39C: BEFE0114
	global_atomic_add_f32 v6, v139, s[8:9] offset:8            // 00000000B3A0: DD348008 00088B06
	s_mov_b64 exec, s[36:37]                                   // 00000000B3A8: BEFE0124
	v_mov_b32_e32 v6, v74                                      // 00000000B3AC: 7E0C034A
	s_mov_b64 s[60:61], 0                                      // 00000000B3B0: BEBC0180
	v_readlane_b32 s82, v3, 28                                 // 00000000B3B4: D2890052 00013903
	s_and_b32 s82, s82, 0xffffff                               // 00000000B3BC: 8652FF52 00FFFFFF
	s_cmp_lt_u32 s82, s66                                      // 00000000B3C4: BF0A4252
	s_cselect_b32 s20, s36, s60                                // 00000000B3C8: 85143C24
	v_readlane_b32 s82, v3, 29                                 // 00000000B3CC: D2890052 00013B03
	s_and_b32 s82, s82, 0xffffff                               // 00000000B3D4: 8652FF52 00FFFFFF
	s_cmp_lt_u32 s82, s66                                      // 00000000B3DC: BF0A4252
	s_cselect_b32 s21, s36, s60                                // 00000000B3E0: 85153C24
	s_mov_b64 exec, s[20:21]                                   // 00000000B3E4: BEFE0114
	global_atomic_add_f32 v6, v142, s[8:9] offset:8            // 00000000B3E8: DD348008 00088E06
	s_mov_b64 exec, s[36:37]                                   // 00000000B3F0: BEFE0124
	v_mov_b32_e32 v6, v75                                      // 00000000B3F4: 7E0C034B
	s_mov_b64 s[60:61], 0                                      // 00000000B3F8: BEBC0180
	v_readlane_b32 s82, v3, 30                                 // 00000000B3FC: D2890052 00013D03
	s_and_b32 s82, s82, 0xffffff                               // 00000000B404: 8652FF52 00FFFFFF
	s_cmp_lt_u32 s82, s66                                      // 00000000B40C: BF0A4252
	s_cselect_b32 s20, s36, s60                                // 00000000B410: 85143C24
	v_readlane_b32 s82, v3, 31                                 // 00000000B414: D2890052 00013F03
	s_and_b32 s82, s82, 0xffffff                               // 00000000B41C: 8652FF52 00FFFFFF
	s_cmp_lt_u32 s82, s66                                      // 00000000B424: BF0A4252
	s_cselect_b32 s21, s36, s60                                // 00000000B428: 85153C24
	s_mov_b64 exec, s[20:21]                                   // 00000000B42C: BEFE0114
	global_atomic_add_f32 v6, v143, s[8:9] offset:8            // 00000000B430: DD348008 00088F06
	s_mov_b64 exec, s[36:37]                                   // 00000000B438: BEFE0124
	s_branch label_2293                                        // 00000000B43C: BF820000

000000000000b440 <label_2293>:
	s_waitcnt vmcnt(0) expcnt(0) lgkmcnt(0)                    // 00000000B440: BF8C0000
	s_endpgm                                                   // 00000000B444: BF810000
